;; amdgpu-corpus repo=ROCm/rocFFT kind=compiled arch=gfx1030 opt=O3
	.text
	.amdgcn_target "amdgcn-amd-amdhsa--gfx1030"
	.amdhsa_code_object_version 6
	.protected	bluestein_single_back_len325_dim1_sp_op_CI_CI ; -- Begin function bluestein_single_back_len325_dim1_sp_op_CI_CI
	.globl	bluestein_single_back_len325_dim1_sp_op_CI_CI
	.p2align	8
	.type	bluestein_single_back_len325_dim1_sp_op_CI_CI,@function
bluestein_single_back_len325_dim1_sp_op_CI_CI: ; @bluestein_single_back_len325_dim1_sp_op_CI_CI
; %bb.0:
	s_load_dwordx4 s[8:11], s[4:5], 0x28
	v_mul_u32_u24_e32 v1, 0x13b2, v0
	v_mov_b32_e32 v137, 0
	s_mov_b32 s0, exec_lo
	v_lshrrev_b32_e32 v4, 16, v1
	v_lshl_add_u32 v136, s6, 2, v4
	s_waitcnt lgkmcnt(0)
	v_cmpx_gt_u64_e64 s[8:9], v[136:137]
	s_cbranch_execz .LBB0_15
; %bb.1:
	s_clause 0x1
	s_load_dwordx4 s[0:3], s[4:5], 0x18
	s_load_dwordx2 s[6:7], s[4:5], 0x0
	v_mul_lo_u16 v1, v4, 13
	v_sub_nc_u16 v35, v0, v1
	v_and_b32_e32 v157, 0xffff, v35
	v_lshlrev_b32_e32 v100, 3, v157
	v_or_b32_e32 v155, 0x120, v157
	s_waitcnt lgkmcnt(0)
	s_load_dwordx4 s[12:15], s[0:1], 0x0
	s_clause 0x3
	global_load_dwordx2 v[149:150], v100, s[6:7]
	global_load_dwordx2 v[147:148], v100, s[6:7] offset:200
	global_load_dwordx2 v[145:146], v100, s[6:7] offset:400
	global_load_dwordx2 v[141:142], v100, s[6:7] offset:600
	v_add_co_u32 v120, s0, s6, v100
	v_add_co_ci_u32_e64 v121, null, s7, 0, s0
	s_clause 0x6
	global_load_dwordx2 v[143:144], v100, s[6:7] offset:800
	global_load_dwordx2 v[137:138], v100, s[6:7] offset:1000
	;; [unrolled: 1-line block ×7, first 2 shown]
	s_waitcnt lgkmcnt(0)
	v_mad_u64_u32 v[0:1], null, s14, v136, 0
	v_mad_u64_u32 v[2:3], null, s12, v157, 0
	s_mul_i32 s1, s13, 25
	s_mul_hi_u32 s8, s12, 25
	s_mul_i32 s0, s12, 25
	s_add_i32 s1, s8, s1
	s_lshl_b64 s[16:17], s[0:1], 3
	v_mad_u64_u32 v[5:6], null, s15, v136, v[1:2]
	v_mad_u64_u32 v[6:7], null, s13, v157, v[3:4]
	v_and_b32_e32 v4, 3, v4
	s_load_dwordx2 s[14:15], s[4:5], 0x38
	v_mov_b32_e32 v1, v5
	v_mul_u32_u24_e32 v4, 0x145, v4
	v_mov_b32_e32 v3, v6
	v_lshlrev_b64 v[0:1], 3, v[0:1]
	v_lshlrev_b32_e32 v158, 3, v4
	v_lshlrev_b64 v[5:6], 3, v[2:3]
	v_add_nc_u32_e32 v156, v158, v100
	v_add_co_u32 v2, vcc_lo, s10, v0
	v_add_co_ci_u32_e32 v3, vcc_lo, s11, v1, vcc_lo
	v_add_co_u32 v0, vcc_lo, v2, v5
	v_add_co_ci_u32_e32 v1, vcc_lo, v3, v6, vcc_lo
	;; [unrolled: 2-line block ×6, first 2 shown]
	s_clause 0x1
	global_load_dwordx2 v[11:12], v[0:1], off
	global_load_dwordx2 v[5:6], v[5:6], off
	v_add_co_u32 v0, vcc_lo, v9, s16
	v_add_co_ci_u32_e32 v1, vcc_lo, s17, v10, vcc_lo
	s_clause 0x1
	global_load_dwordx2 v[7:8], v[7:8], off
	global_load_dwordx2 v[9:10], v[9:10], off
	v_add_co_u32 v13, vcc_lo, v0, s16
	v_add_co_ci_u32_e32 v14, vcc_lo, s17, v1, vcc_lo
	global_load_dwordx2 v[15:16], v[0:1], off
	v_add_co_u32 v0, vcc_lo, v13, s16
	v_add_co_ci_u32_e32 v1, vcc_lo, s17, v14, vcc_lo
	;; [unrolled: 3-line block ×8, first 2 shown]
	global_load_dwordx2 v[25:26], v[25:26], off
	s_clause 0x1
	global_load_dwordx2 v[132:133], v[122:123], off offset:152
	global_load_dwordx2 v[134:135], v[122:123], off offset:352
	global_load_dwordx2 v[29:30], v[0:1], off
	s_load_dwordx4 s[8:11], s[2:3], 0x0
	v_cmp_gt_u16_e32 vcc_lo, 12, v35
	s_waitcnt vmcnt(14)
	v_mul_f32_e32 v31, v12, v150
	v_mul_f32_e32 v4, v11, v150
	s_waitcnt vmcnt(13)
	v_mul_f32_e32 v33, v6, v148
	v_mul_f32_e32 v34, v5, v148
	v_fmac_f32_e32 v31, v11, v149
	v_fma_f32 v32, v12, v149, -v4
	v_fmac_f32_e32 v33, v5, v147
	v_fma_f32 v34, v6, v147, -v34
	s_waitcnt vmcnt(12)
	v_mul_f32_e32 v5, v8, v146
	v_mul_f32_e32 v6, v7, v146
	s_waitcnt vmcnt(11)
	v_mul_f32_e32 v11, v10, v142
	v_add_nc_u32_e32 v4, 0x400, v156
	ds_write2_b64 v156, v[31:32], v[33:34] offset1:25
	v_fmac_f32_e32 v5, v7, v145
	v_fma_f32 v6, v8, v145, -v6
	v_mul_f32_e32 v8, v9, v142
	v_fmac_f32_e32 v11, v9, v141
	s_waitcnt vmcnt(10)
	v_mul_f32_e32 v7, v16, v144
	v_mul_f32_e32 v31, v15, v144
	s_waitcnt vmcnt(9)
	v_mul_f32_e32 v9, v14, v138
	v_mul_f32_e32 v32, v13, v138
	v_fma_f32 v12, v10, v141, -v8
	v_fmac_f32_e32 v7, v15, v143
	v_fma_f32 v8, v16, v143, -v31
	v_fmac_f32_e32 v9, v13, v137
	v_fma_f32 v10, v14, v137, -v32
	ds_write2_b64 v156, v[5:6], v[11:12] offset0:50 offset1:75
	s_waitcnt vmcnt(7)
	v_mul_f32_e32 v11, v18, v131
	v_mul_f32_e32 v5, v20, v140
	;; [unrolled: 1-line block ×3, first 2 shown]
	ds_write2_b64 v156, v[7:8], v[9:10] offset0:100 offset1:125
	v_mul_f32_e32 v8, v17, v131
	s_waitcnt vmcnt(6)
	v_mul_f32_e32 v7, v24, v125
	v_fmac_f32_e32 v11, v17, v130
	v_fmac_f32_e32 v5, v19, v139
	s_waitcnt vmcnt(5)
	v_mul_f32_e32 v9, v22, v129
	v_fma_f32 v12, v18, v130, -v8
	v_mul_f32_e32 v8, v23, v125
	v_mul_f32_e32 v10, v21, v129
	v_fma_f32 v6, v20, v139, -v6
	s_waitcnt vmcnt(4)
	v_mul_f32_e32 v13, v28, v127
	v_mul_f32_e32 v14, v27, v127
	v_fmac_f32_e32 v7, v23, v124
	s_waitcnt vmcnt(2)
	v_mul_f32_e32 v15, v26, v133
	v_mul_f32_e32 v16, v25, v133
	s_waitcnt vmcnt(0)
	v_mul_f32_e32 v17, v30, v135
	v_mul_f32_e32 v18, v29, v135
	v_fma_f32 v8, v24, v124, -v8
	v_fmac_f32_e32 v9, v21, v128
	v_fma_f32 v10, v22, v128, -v10
	v_fmac_f32_e32 v13, v27, v126
	;; [unrolled: 2-line block ×4, first 2 shown]
	v_fma_f32 v18, v30, v134, -v18
	ds_write2_b64 v156, v[5:6], v[11:12] offset0:150 offset1:175
	ds_write2_b64 v156, v[7:8], v[9:10] offset0:200 offset1:225
	ds_write2_b64 v4, v[13:14], v[15:16] offset0:122 offset1:147
	ds_write_b64 v156, v[17:18] offset:2400
	s_and_saveexec_b32 s1, vcc_lo
	s_cbranch_execz .LBB0_3
; %bb.2:
	v_mad_u64_u32 v[0:1], null, 0xfffff708, s12, v[0:1]
	s_mul_i32 s0, s13, 0xfffff708
	s_clause 0x3
	global_load_dwordx2 v[11:12], v[120:121], off offset:104
	global_load_dwordx2 v[13:14], v[120:121], off offset:304
	;; [unrolled: 1-line block ×4, first 2 shown]
	s_sub_i32 s0, s0, s12
	v_mad_u64_u32 v[7:8], null, s12, v155, 0
	v_add_nc_u32_e32 v1, s0, v1
	v_add_co_u32 v5, s0, v0, s16
	v_add_co_ci_u32_e64 v6, s0, s17, v1, s0
	v_add_co_u32 v9, s0, v5, s16
	v_add_co_ci_u32_e64 v10, s0, s17, v6, s0
	;; [unrolled: 2-line block ×4, first 2 shown]
	global_load_dwordx2 v[0:1], v[0:1], off
	global_load_dwordx2 v[5:6], v[5:6], off
	;; [unrolled: 1-line block ×5, first 2 shown]
	global_load_dwordx2 v[28:29], v[120:121], off offset:904
	v_add_co_u32 v21, s0, v21, s16
	v_add_co_ci_u32_e64 v22, s0, s17, v22, s0
	s_waitcnt vmcnt(5)
	v_mul_f32_e32 v55, v1, v12
	s_waitcnt vmcnt(3)
	v_mad_u64_u32 v[25:26], null, s13, v155, v[8:9]
	v_add_co_u32 v26, s0, v21, s16
	v_add_co_ci_u32_e64 v27, s0, s17, v22, s0
	v_fmac_f32_e32 v55, v0, v11
	v_add_co_u32 v30, s0, v26, s16
	v_add_co_ci_u32_e64 v31, s0, s17, v27, s0
	v_mov_b32_e32 v8, v25
	v_add_co_u32 v32, s0, v30, s16
	v_add_co_ci_u32_e64 v33, s0, s17, v31, s0
	v_lshlrev_b64 v[7:8], 3, v[7:8]
	v_add_co_u32 v34, s0, v32, s16
	v_add_co_ci_u32_e64 v35, s0, s17, v33, s0
	v_lshlrev_b32_e32 v25, 3, v155
	v_add_co_u32 v2, s0, v2, v7
	v_add_co_ci_u32_e64 v3, s0, v3, v8, s0
	v_add_co_u32 v7, s0, v34, s16
	v_add_co_ci_u32_e64 v8, s0, s17, v35, s0
	global_load_dwordx2 v[2:3], v[2:3], off
	s_clause 0x1
	global_load_dwordx2 v[36:37], v[122:123], off offset:456
	global_load_dwordx2 v[38:39], v25, s[6:7]
	global_load_dwordx2 v[21:22], v[21:22], off
	global_load_dwordx2 v[42:43], v[120:121], off offset:1104
	global_load_dwordx2 v[25:26], v[26:27], off
	global_load_dwordx2 v[44:45], v[120:121], off offset:1304
	;; [unrolled: 2-line block ×3, first 2 shown]
	v_mad_u64_u32 v[40:41], null, 0x190, s12, v[7:8]
	v_mov_b32_e32 v27, v41
	s_waitcnt vmcnt(9)
	v_mad_u64_u32 v[48:49], null, 0x190, s13, v[27:28]
	global_load_dwordx2 v[32:33], v[32:33], off
	global_load_dwordx2 v[49:50], v[120:121], off offset:1704
	global_load_dwordx2 v[34:35], v[34:35], off
	global_load_dwordx2 v[51:52], v[120:121], off offset:1904
	v_mul_f32_e32 v27, v0, v12
	v_mul_f32_e32 v12, v6, v14
	;; [unrolled: 1-line block ×4, first 2 shown]
	v_mov_b32_e32 v41, v48
	global_load_dwordx2 v[53:54], v[122:123], off offset:56
	global_load_dwordx2 v[7:8], v[7:8], off
	global_load_dwordx2 v[40:41], v[40:41], off
	v_fma_f32 v56, v1, v11, -v27
	v_fmac_f32_e32 v12, v5, v13
	v_fma_f32 v13, v6, v13, -v14
	v_mul_f32_e32 v1, v9, v16
	v_mul_f32_e32 v5, v20, v18
	;; [unrolled: 1-line block ×3, first 2 shown]
	v_fmac_f32_e32 v0, v9, v15
	ds_write2_b64 v156, v[55:56], v[12:13] offset0:13 offset1:38
	v_fma_f32 v1, v10, v15, -v1
	v_fmac_f32_e32 v5, v19, v17
	v_fma_f32 v6, v20, v17, -v6
	v_mul_f32_e32 v9, v24, v29
	v_mul_f32_e32 v10, v23, v29
	v_add_nc_u32_e32 v48, 0x800, v156
	ds_write2_b64 v156, v[0:1], v[5:6] offset0:63 offset1:88
	v_fmac_f32_e32 v9, v23, v28
	v_fma_f32 v10, v24, v28, -v10
	s_waitcnt vmcnt(11)
	v_mul_f32_e32 v0, v22, v43
	v_mul_f32_e32 v11, v3, v39
	;; [unrolled: 1-line block ×4, first 2 shown]
	s_waitcnt vmcnt(7)
	v_mul_f32_e32 v5, v31, v47
	v_mul_f32_e32 v6, v30, v47
	v_fmac_f32_e32 v11, v2, v38
	v_mul_f32_e32 v2, v26, v45
	v_fma_f32 v12, v3, v38, -v12
	v_mul_f32_e32 v3, v25, v45
	v_fmac_f32_e32 v0, v21, v42
	v_fma_f32 v1, v22, v42, -v1
	v_fmac_f32_e32 v2, v25, v44
	v_fmac_f32_e32 v5, v30, v46
	v_fma_f32 v3, v26, v44, -v3
	v_fma_f32 v6, v31, v46, -v6
	s_waitcnt vmcnt(5)
	v_mul_f32_e32 v13, v33, v50
	v_mul_f32_e32 v14, v32, v50
	s_waitcnt vmcnt(3)
	v_mul_f32_e32 v15, v35, v52
	v_mul_f32_e32 v16, v34, v52
	v_fmac_f32_e32 v13, v32, v49
	v_fma_f32 v14, v33, v49, -v14
	v_fmac_f32_e32 v15, v34, v51
	v_fma_f32 v16, v35, v51, -v16
	s_waitcnt vmcnt(1)
	v_mul_f32_e32 v17, v8, v54
	v_mul_f32_e32 v18, v7, v54
	s_waitcnt vmcnt(0)
	v_mul_f32_e32 v19, v41, v37
	v_mul_f32_e32 v20, v40, v37
	v_fmac_f32_e32 v17, v7, v53
	v_fma_f32 v18, v8, v53, -v18
	v_fmac_f32_e32 v19, v40, v36
	v_fma_f32 v20, v41, v36, -v20
	ds_write2_b64 v156, v[9:10], v[0:1] offset0:113 offset1:138
	ds_write2_b64 v156, v[2:3], v[5:6] offset0:163 offset1:188
	;; [unrolled: 1-line block ×4, first 2 shown]
	ds_write_b64 v156, v[19:20] offset:2504
.LBB0_3:
	s_or_b32 exec_lo, exec_lo, s1
	s_waitcnt lgkmcnt(0)
	s_barrier
	buffer_gl0_inv
	ds_read2_b64 v[44:47], v156 offset1:25
	ds_read2_b64 v[36:39], v156 offset0:50 offset1:75
	ds_read2_b64 v[28:31], v156 offset0:100 offset1:125
	ds_read2_b64 v[24:27], v156 offset0:150 offset1:175
	ds_read2_b64 v[32:35], v156 offset0:200 offset1:225
	ds_read2_b64 v[40:43], v4 offset0:122 offset1:147
	ds_read_b64 v[50:51], v156 offset:2400
	s_load_dwordx2 s[0:1], s[4:5], 0x8
	v_mov_b32_e32 v0, 0
	v_mov_b32_e32 v1, 0
                                        ; implicit-def: $vgpr14
                                        ; implicit-def: $vgpr8
                                        ; implicit-def: $vgpr4
                                        ; implicit-def: $vgpr48
                                        ; implicit-def: $vgpr18
                                        ; implicit-def: $vgpr22
	s_and_saveexec_b32 s2, vcc_lo
	s_cbranch_execz .LBB0_5
; %bb.4:
	v_add_nc_u32_e32 v4, 0x800, v156
	ds_read2_b64 v[0:3], v156 offset0:13 offset1:38
	ds_read2_b64 v[20:23], v156 offset0:63 offset1:88
	;; [unrolled: 1-line block ×6, first 2 shown]
	ds_read_b64 v[48:49], v156 offset:2504
.LBB0_5:
	s_or_b32 exec_lo, exec_lo, s2
	s_waitcnt lgkmcnt(0)
	v_add_f32_e32 v53, v44, v46
	v_add_f32_e32 v54, v45, v47
	;; [unrolled: 1-line block ×3, first 2 shown]
	v_sub_f32_e32 v57, v46, v50
	v_sub_f32_e32 v56, v47, v51
	v_add_f32_e32 v53, v53, v36
	v_add_f32_e32 v54, v54, v37
	v_sub_f32_e32 v76, v37, v43
	v_mul_f32_e32 v58, 0xbeedf032, v57
	v_mul_f32_e32 v59, 0xbf52af12, v56
	v_add_f32_e32 v46, v53, v38
	v_add_f32_e32 v53, v54, v39
	;; [unrolled: 1-line block ×3, first 2 shown]
	v_mul_f32_e32 v47, 0xbeedf032, v56
	v_mul_f32_e32 v60, 0xbf52af12, v57
	v_add_f32_e32 v46, v46, v28
	v_add_f32_e32 v53, v53, v29
	v_mul_f32_e32 v61, 0xbf7e222b, v56
	v_mul_f32_e32 v62, 0xbf7e222b, v57
	v_fma_f32 v64, 0x3f62ad3f, v55, -v47
	v_add_f32_e32 v46, v46, v30
	v_add_f32_e32 v53, v53, v31
	v_fmamk_f32 v65, v54, 0x3f62ad3f, v58
	v_fmac_f32_e32 v47, 0x3f62ad3f, v55
	v_fma_f32 v58, 0x3f62ad3f, v54, -v58
	v_add_f32_e32 v46, v46, v24
	v_add_f32_e32 v53, v53, v25
	v_fma_f32 v66, 0x3f116cb1, v55, -v59
	v_fmamk_f32 v67, v54, 0x3f116cb1, v60
	v_fma_f32 v68, 0x3df6dbef, v55, -v61
	v_add_f32_e32 v46, v46, v26
	v_add_f32_e32 v53, v53, v27
	v_fmamk_f32 v69, v54, 0x3df6dbef, v62
	v_add_f32_e32 v70, v44, v47
	v_mul_f32_e32 v72, 0xbf29c268, v57
	v_add_f32_e32 v46, v46, v32
	v_add_f32_e32 v53, v53, v33
	;; [unrolled: 1-line block ×3, first 2 shown]
	v_mul_f32_e32 v79, 0xbf52af12, v76
	v_mul_f32_e32 v63, 0xbf6f5d39, v56
	v_add_f32_e32 v46, v46, v34
	v_add_f32_e32 v53, v53, v35
	v_fma_f32 v60, 0x3f116cb1, v54, -v60
	v_add_f32_e32 v64, v44, v64
	v_fmamk_f32 v74, v54, 0xbf3f9e67, v72
	v_add_f32_e32 v46, v46, v40
	v_add_f32_e32 v47, v53, v41
	;; [unrolled: 1-line block ×7, first 2 shown]
	v_mul_f32_e32 v68, 0xbf6f5d39, v57
	v_mul_f32_e32 v57, 0xbe750f2a, v57
	v_add_f32_e32 v47, v47, v43
	v_add_f32_e32 v46, v46, v50
	v_fma_f32 v50, 0x3df6dbef, v54, -v62
	v_add_f32_e32 v62, v45, v69
	v_mul_f32_e32 v69, 0xbf29c268, v56
	v_fmamk_f32 v71, v54, 0xbeb58ec6, v68
	v_fma_f32 v68, 0xbeb58ec6, v54, -v68
	v_mul_f32_e32 v56, 0xbe750f2a, v56
	v_fma_f32 v72, 0xbf3f9e67, v54, -v72
	v_fmamk_f32 v77, v54, 0xbf788fa5, v57
	v_sub_f32_e32 v36, v36, v42
	v_fma_f32 v42, 0xbf788fa5, v54, -v57
	v_fma_f32 v54, 0x3f116cb1, v78, -v79
	v_fmac_f32_e32 v59, 0x3f116cb1, v55
	v_add_f32_e32 v65, v45, v65
	v_add_f32_e32 v60, v45, v60
	;; [unrolled: 1-line block ×3, first 2 shown]
	v_fmac_f32_e32 v61, 0x3df6dbef, v55
	v_fma_f32 v51, 0xbeb58ec6, v55, -v63
	v_add_f32_e32 v50, v45, v50
	v_fmac_f32_e32 v63, 0xbeb58ec6, v55
	v_fma_f32 v73, 0xbf3f9e67, v55, -v69
	v_add_f32_e32 v71, v45, v71
	v_add_f32_e32 v68, v45, v68
	v_fmac_f32_e32 v69, 0xbf3f9e67, v55
	v_add_f32_e32 v74, v45, v74
	v_fma_f32 v75, 0xbf788fa5, v55, -v56
	v_add_f32_e32 v72, v45, v72
	v_add_f32_e32 v77, v45, v77
	v_fmac_f32_e32 v56, 0xbf788fa5, v55
	v_add_f32_e32 v37, v43, v37
	v_mul_f32_e32 v43, 0xbf52af12, v36
	v_add_f32_e32 v42, v45, v42
	v_add_f32_e32 v45, v54, v64
	v_mul_f32_e32 v54, 0xbf6f5d39, v76
	v_add_f32_e32 v59, v44, v59
	v_add_f32_e32 v61, v44, v61
	;; [unrolled: 1-line block ×8, first 2 shown]
	v_fmamk_f32 v55, v37, 0x3f116cb1, v43
	v_fma_f32 v43, 0x3f116cb1, v37, -v43
	v_mul_f32_e32 v56, 0xbf6f5d39, v36
	v_fma_f32 v57, 0xbeb58ec6, v78, -v54
	v_fmac_f32_e32 v54, 0xbeb58ec6, v78
	v_add_f32_e32 v55, v55, v65
	v_add_f32_e32 v43, v43, v53
	v_fmamk_f32 v53, v37, 0xbeb58ec6, v56
	v_add_f32_e32 v57, v57, v58
	v_mul_f32_e32 v58, 0xbe750f2a, v76
	v_fma_f32 v56, 0xbeb58ec6, v37, -v56
	v_mul_f32_e32 v65, 0xbe750f2a, v36
	v_add_f32_e32 v53, v53, v66
	v_add_f32_e32 v54, v54, v59
	v_fma_f32 v66, 0xbf788fa5, v78, -v58
	v_mul_f32_e32 v59, 0x3f29c268, v76
	v_fmac_f32_e32 v58, 0xbf788fa5, v78
	v_fmac_f32_e32 v79, 0x3f116cb1, v78
	v_add_f32_e32 v56, v56, v60
	v_fmamk_f32 v60, v37, 0xbf788fa5, v65
	v_add_f32_e32 v66, v66, v67
	v_fma_f32 v67, 0xbf3f9e67, v78, -v59
	v_add_f32_e32 v58, v58, v61
	v_mul_f32_e32 v61, 0x3f7e222b, v76
	v_add_f32_e32 v64, v79, v70
	v_fma_f32 v65, 0xbf788fa5, v37, -v65
	v_add_f32_e32 v60, v60, v62
	v_mul_f32_e32 v62, 0x3f29c268, v36
	v_add_f32_e32 v51, v67, v51
	v_fmac_f32_e32 v59, 0xbf3f9e67, v78
	v_mul_f32_e32 v67, 0x3f7e222b, v36
	v_fma_f32 v70, 0x3df6dbef, v78, -v61
	v_fmac_f32_e32 v61, 0x3df6dbef, v78
	v_add_f32_e32 v50, v65, v50
	v_fmamk_f32 v65, v37, 0xbf3f9e67, v62
	v_fma_f32 v62, 0xbf3f9e67, v37, -v62
	v_add_f32_e32 v59, v59, v63
	v_fmamk_f32 v63, v37, 0x3df6dbef, v67
	v_fma_f32 v67, 0x3df6dbef, v37, -v67
	v_add_f32_e32 v61, v61, v69
	v_sub_f32_e32 v69, v39, v41
	v_add_f32_e32 v62, v62, v68
	v_add_f32_e32 v68, v70, v73
	v_mul_f32_e32 v70, 0x3eedf032, v76
	v_add_f32_e32 v63, v63, v74
	v_mul_f32_e32 v36, 0x3eedf032, v36
	v_add_f32_e32 v67, v67, v72
	v_add_f32_e32 v72, v40, v38
	v_mul_f32_e32 v74, 0xbf7e222b, v69
	v_sub_f32_e32 v38, v38, v40
	v_add_f32_e32 v65, v65, v71
	v_fma_f32 v71, 0x3f62ad3f, v78, -v70
	v_fmamk_f32 v73, v37, 0x3f62ad3f, v36
	v_fmac_f32_e32 v70, 0x3f62ad3f, v78
	v_fma_f32 v36, 0x3f62ad3f, v37, -v36
	v_fma_f32 v37, 0x3df6dbef, v72, -v74
	v_add_f32_e32 v39, v41, v39
	v_mul_f32_e32 v40, 0xbf7e222b, v38
	v_add_f32_e32 v41, v70, v44
	v_add_f32_e32 v36, v36, v42
	;; [unrolled: 1-line block ×3, first 2 shown]
	v_mul_f32_e32 v45, 0xbe750f2a, v38
	v_fmamk_f32 v44, v39, 0x3df6dbef, v40
	v_fma_f32 v40, 0x3df6dbef, v39, -v40
	v_mul_f32_e32 v42, 0xbe750f2a, v69
	v_fmac_f32_e32 v74, 0x3df6dbef, v72
	v_add_f32_e32 v71, v71, v75
	v_add_f32_e32 v44, v44, v55
	;; [unrolled: 1-line block ×3, first 2 shown]
	v_fmamk_f32 v43, v39, 0xbf788fa5, v45
	v_fma_f32 v70, 0xbf788fa5, v72, -v42
	v_add_f32_e32 v55, v74, v64
	v_mul_f32_e32 v64, 0x3f6f5d39, v69
	v_fmac_f32_e32 v42, 0xbf788fa5, v72
	v_fma_f32 v45, 0xbf788fa5, v39, -v45
	v_add_f32_e32 v43, v43, v53
	v_mul_f32_e32 v53, 0x3f6f5d39, v38
	v_add_f32_e32 v57, v70, v57
	v_fma_f32 v70, 0xbeb58ec6, v72, -v64
	v_add_f32_e32 v42, v42, v54
	v_add_f32_e32 v45, v45, v56
	v_mul_f32_e32 v54, 0x3eedf032, v69
	v_fmamk_f32 v56, v39, 0xbeb58ec6, v53
	v_add_f32_e32 v66, v70, v66
	v_fmac_f32_e32 v64, 0xbeb58ec6, v72
	v_fma_f32 v53, 0xbeb58ec6, v39, -v53
	v_fma_f32 v70, 0x3f62ad3f, v72, -v54
	v_add_f32_e32 v56, v56, v60
	v_mul_f32_e32 v60, 0x3eedf032, v38
	v_add_f32_e32 v58, v64, v58
	v_add_f32_e32 v50, v53, v50
	;; [unrolled: 1-line block ×3, first 2 shown]
	v_mul_f32_e32 v53, 0xbf52af12, v69
	v_fmamk_f32 v64, v39, 0x3f62ad3f, v60
	v_fmac_f32_e32 v54, 0x3f62ad3f, v72
	v_mul_f32_e32 v70, 0xbf52af12, v38
	v_fma_f32 v60, 0x3f62ad3f, v39, -v60
	v_fma_f32 v74, 0x3f116cb1, v72, -v53
	v_add_f32_e32 v64, v64, v65
	v_add_f32_e32 v54, v54, v59
	v_fmamk_f32 v59, v39, 0x3f116cb1, v70
	v_mul_f32_e32 v65, 0xbf29c268, v69
	v_fmac_f32_e32 v53, 0x3f116cb1, v72
	v_add_f32_e32 v60, v60, v62
	v_add_f32_e32 v62, v74, v68
	;; [unrolled: 1-line block ×3, first 2 shown]
	v_fma_f32 v63, 0x3f116cb1, v39, -v70
	v_fma_f32 v68, 0xbf3f9e67, v72, -v65
	v_add_f32_e32 v53, v53, v61
	v_sub_f32_e32 v61, v29, v35
	v_mul_f32_e32 v38, 0xbf29c268, v38
	v_add_f32_e32 v63, v63, v67
	v_add_f32_e32 v67, v68, v71
	;; [unrolled: 1-line block ×3, first 2 shown]
	v_mul_f32_e32 v70, 0xbf6f5d39, v61
	v_fmamk_f32 v69, v39, 0xbf3f9e67, v38
	v_sub_f32_e32 v28, v28, v34
	v_fma_f32 v34, 0xbf3f9e67, v39, -v38
	v_fmac_f32_e32 v65, 0xbf3f9e67, v72
	v_fma_f32 v38, 0xbeb58ec6, v68, -v70
	v_add_f32_e32 v29, v35, v29
	v_mul_f32_e32 v35, 0xbf6f5d39, v28
	v_add_f32_e32 v34, v34, v36
	v_add_f32_e32 v39, v65, v41
	;; [unrolled: 1-line block ×3, first 2 shown]
	v_mul_f32_e32 v37, 0x3f29c268, v61
	v_fmamk_f32 v38, v29, 0xbeb58ec6, v35
	v_fmac_f32_e32 v70, 0xbeb58ec6, v68
	v_fma_f32 v35, 0xbeb58ec6, v29, -v35
	v_mul_f32_e32 v41, 0x3f29c268, v28
	v_fma_f32 v65, 0xbf3f9e67, v68, -v37
	v_add_f32_e32 v38, v38, v44
	v_add_f32_e32 v44, v70, v55
	;; [unrolled: 1-line block ×3, first 2 shown]
	v_fmamk_f32 v40, v29, 0xbf3f9e67, v41
	v_add_f32_e32 v55, v65, v57
	v_mul_f32_e32 v57, 0x3eedf032, v61
	v_fmac_f32_e32 v37, 0xbf3f9e67, v68
	v_fma_f32 v41, 0xbf3f9e67, v29, -v41
	v_add_f32_e32 v40, v40, v43
	v_mul_f32_e32 v43, 0x3eedf032, v28
	v_fma_f32 v65, 0x3f62ad3f, v68, -v57
	v_add_f32_e32 v37, v37, v42
	v_mul_f32_e32 v42, 0xbf7e222b, v61
	v_add_f32_e32 v41, v41, v45
	v_fmamk_f32 v45, v29, 0x3f62ad3f, v43
	v_add_f32_e32 v65, v65, v66
	v_fma_f32 v43, 0x3f62ad3f, v29, -v43
	v_fma_f32 v66, 0x3df6dbef, v68, -v42
	v_fmac_f32_e32 v42, 0x3df6dbef, v68
	v_fmac_f32_e32 v57, 0x3f62ad3f, v68
	v_add_f32_e32 v45, v45, v56
	v_add_f32_e32 v43, v43, v50
	;; [unrolled: 1-line block ×3, first 2 shown]
	v_mul_f32_e32 v51, 0x3e750f2a, v61
	v_mul_f32_e32 v66, 0x3e750f2a, v28
	;; [unrolled: 1-line block ×3, first 2 shown]
	v_add_f32_e32 v42, v42, v54
	v_add_f32_e32 v57, v57, v58
	v_fma_f32 v70, 0xbf788fa5, v68, -v51
	v_fmamk_f32 v54, v29, 0xbf788fa5, v66
	v_fmac_f32_e32 v51, 0xbf788fa5, v68
	v_fmamk_f32 v58, v29, 0x3df6dbef, v56
	v_mul_f32_e32 v28, 0x3f52af12, v28
	v_fma_f32 v56, 0x3df6dbef, v29, -v56
	v_add_f32_e32 v54, v54, v59
	v_fma_f32 v59, 0xbf788fa5, v29, -v66
	v_add_f32_e32 v51, v51, v53
	v_sub_f32_e32 v53, v31, v33
	v_add_f32_e32 v58, v58, v64
	v_mul_f32_e32 v61, 0x3f52af12, v61
	v_fmamk_f32 v64, v29, 0x3f116cb1, v28
	v_add_f32_e32 v59, v59, v63
	v_add_f32_e32 v63, v32, v30
	v_mul_f32_e32 v66, 0xbf29c268, v53
	v_sub_f32_e32 v30, v30, v32
	v_fma_f32 v28, 0x3f116cb1, v29, -v28
	v_add_f32_e32 v56, v56, v60
	v_add_f32_e32 v60, v70, v62
	v_fma_f32 v62, 0x3f116cb1, v68, -v61
	v_fmac_f32_e32 v61, 0x3f116cb1, v68
	v_fma_f32 v29, 0xbf3f9e67, v63, -v66
	v_add_f32_e32 v31, v33, v31
	v_mul_f32_e32 v32, 0xbf29c268, v30
	v_add_f32_e32 v28, v28, v34
	v_mul_f32_e32 v34, 0x3f7e222b, v53
	v_add_f32_e32 v33, v61, v39
	v_add_f32_e32 v29, v29, v36
	v_fmamk_f32 v36, v31, 0xbf3f9e67, v32
	v_fmac_f32_e32 v66, 0xbf3f9e67, v63
	v_fma_f32 v32, 0xbf3f9e67, v31, -v32
	v_mul_f32_e32 v39, 0x3f7e222b, v30
	v_fma_f32 v61, 0x3df6dbef, v63, -v34
	v_add_f32_e32 v36, v36, v38
	v_add_f32_e32 v38, v66, v44
	;; [unrolled: 1-line block ×3, first 2 shown]
	v_fmamk_f32 v35, v31, 0x3df6dbef, v39
	v_add_f32_e32 v44, v61, v55
	v_mul_f32_e32 v55, 0xbf52af12, v53
	v_fmac_f32_e32 v34, 0x3df6dbef, v63
	v_fma_f32 v39, 0x3df6dbef, v31, -v39
	v_add_f32_e32 v35, v35, v40
	v_mul_f32_e32 v40, 0xbf52af12, v30
	v_fma_f32 v61, 0x3f116cb1, v63, -v55
	v_add_f32_e32 v34, v34, v37
	v_add_f32_e32 v37, v39, v41
	v_mul_f32_e32 v39, 0x3e750f2a, v53
	v_fmamk_f32 v41, v31, 0x3f116cb1, v40
	v_add_f32_e32 v61, v61, v65
	v_fma_f32 v40, 0x3f116cb1, v31, -v40
	v_fmac_f32_e32 v55, 0x3f116cb1, v63
	v_fma_f32 v65, 0xbf788fa5, v63, -v39
	v_add_f32_e32 v41, v41, v45
	v_mul_f32_e32 v45, 0x3e750f2a, v30
	v_add_f32_e32 v40, v40, v43
	v_fmac_f32_e32 v39, 0xbf788fa5, v63
	v_add_f32_e32 v43, v65, v50
	v_mul_f32_e32 v50, 0x3eedf032, v53
	v_mul_f32_e32 v65, 0x3eedf032, v30
	v_add_f32_e32 v55, v55, v57
	v_fmamk_f32 v57, v31, 0xbf788fa5, v45
	v_add_f32_e32 v39, v39, v42
	v_fma_f32 v66, 0x3f62ad3f, v63, -v50
	v_fmamk_f32 v42, v31, 0x3f62ad3f, v65
	v_mul_f32_e32 v53, 0xbf6f5d39, v53
	v_fmac_f32_e32 v50, 0x3f62ad3f, v63
	v_add_f32_e32 v62, v62, v67
	v_add_f32_e32 v57, v57, v58
	;; [unrolled: 1-line block ×3, first 2 shown]
	v_fma_f32 v54, 0x3f62ad3f, v31, -v65
	v_fma_f32 v58, 0xbeb58ec6, v63, -v53
	v_add_f32_e32 v50, v50, v51
	v_sub_f32_e32 v51, v25, v27
	v_fma_f32 v45, 0xbf788fa5, v31, -v45
	v_mul_f32_e32 v30, 0xbf6f5d39, v30
	v_add_f32_e32 v59, v54, v59
	v_add_f32_e32 v58, v58, v62
	;; [unrolled: 1-line block ×3, first 2 shown]
	v_mul_f32_e32 v54, 0xbe750f2a, v51
	v_sub_f32_e32 v26, v24, v26
	v_add_f32_e32 v45, v45, v56
	v_add_f32_e32 v56, v66, v60
	v_fmamk_f32 v60, v31, 0xbeb58ec6, v30
	v_fma_f32 v24, 0xbeb58ec6, v31, -v30
	v_fma_f32 v30, 0xbf788fa5, v62, -v54
	v_add_f32_e32 v27, v27, v25
	v_mul_f32_e32 v25, 0xbe750f2a, v26
	v_mul_f32_e32 v31, 0x3eedf032, v26
	v_add_f32_e32 v88, v24, v28
	v_add_f32_e32 v24, v30, v29
	v_fmac_f32_e32 v53, 0xbeb58ec6, v63
	v_fmamk_f32 v29, v27, 0xbf788fa5, v25
	v_mul_f32_e32 v28, 0x3eedf032, v51
	v_fma_f32 v30, 0xbf788fa5, v27, -v25
	v_add_f32_e32 v73, v73, v77
	v_add_f32_e32 v87, v53, v33
	;; [unrolled: 1-line block ×3, first 2 shown]
	v_fmamk_f32 v29, v27, 0x3f62ad3f, v31
	v_fma_f32 v33, 0x3f62ad3f, v62, -v28
	v_add_f32_e32 v68, v30, v32
	v_mul_f32_e32 v30, 0xbf29c268, v51
	v_fmac_f32_e32 v28, 0x3f62ad3f, v62
	v_fma_f32 v31, 0x3f62ad3f, v27, -v31
	v_add_f32_e32 v70, v29, v35
	v_mul_f32_e32 v29, 0xbf29c268, v26
	v_fma_f32 v32, 0xbf3f9e67, v62, -v30
	v_add_f32_e32 v71, v28, v34
	v_add_f32_e32 v72, v31, v37
	v_mul_f32_e32 v28, 0x3f52af12, v51
	v_fmamk_f32 v31, v27, 0xbf3f9e67, v29
	v_add_f32_e32 v69, v69, v73
	v_add_f32_e32 v73, v32, v61
	v_fmac_f32_e32 v30, 0xbf3f9e67, v62
	v_fma_f32 v29, 0xbf3f9e67, v27, -v29
	v_fma_f32 v32, 0x3f116cb1, v62, -v28
	v_add_f32_e32 v74, v31, v41
	v_mul_f32_e32 v31, 0x3f52af12, v26
	v_fmac_f32_e32 v54, 0xbf788fa5, v62
	v_add_f32_e32 v75, v30, v55
	v_add_f32_e32 v76, v29, v40
	;; [unrolled: 1-line block ×3, first 2 shown]
	v_mul_f32_e32 v29, 0xbf6f5d39, v51
	v_fmamk_f32 v30, v27, 0x3f116cb1, v31
	v_mul_f32_e32 v32, 0xbf6f5d39, v26
	v_fmac_f32_e32 v28, 0x3f116cb1, v62
	v_add_f32_e32 v64, v64, v69
	v_add_f32_e32 v67, v54, v38
	v_add_f32_e32 v69, v33, v44
	v_fma_f32 v33, 0xbeb58ec6, v62, -v29
	v_add_f32_e32 v78, v30, v57
	v_fmamk_f32 v30, v27, 0xbeb58ec6, v32
	v_add_f32_e32 v79, v28, v39
	v_fmac_f32_e32 v29, 0xbeb58ec6, v62
	v_mul_f32_e32 v89, 0x3f7e222b, v51
	v_mul_f32_e32 v28, 0x3f7e222b, v26
	v_fma_f32 v26, 0xbeb58ec6, v27, -v32
	v_sub_f32_e32 v54, v3, v49
	v_add_f32_e32 v60, v60, v64
	v_add_f32_e32 v82, v30, v42
	;; [unrolled: 1-line block ×3, first 2 shown]
	v_fma_f32 v29, 0x3df6dbef, v62, -v89
	v_fmamk_f32 v30, v27, 0x3df6dbef, v28
	v_add_f32_e32 v84, v26, v59
	v_add_f32_e32 v26, v48, v2
	v_mul_f32_e32 v38, 0xbeedf032, v54
	v_sub_f32_e32 v61, v2, v48
	v_sub_f32_e32 v57, v21, v7
	v_fma_f32 v31, 0x3f116cb1, v27, -v31
	v_add_f32_e32 v85, v29, v58
	v_add_f32_e32 v86, v30, v60
	v_fmac_f32_e32 v89, 0x3df6dbef, v62
	v_fmamk_f32 v30, v26, 0x3f62ad3f, v38
	v_fma_f32 v90, 0x3df6dbef, v27, -v28
	v_add_f32_e32 v29, v49, v3
	v_mul_f32_e32 v50, 0xbeedf032, v61
	v_add_f32_e32 v27, v6, v20
	v_sub_f32_e32 v62, v20, v6
	v_mul_f32_e32 v39, 0xbf52af12, v57
	v_sub_f32_e32 v58, v23, v5
	v_add_f32_e32 v80, v31, v45
	v_add_f32_e32 v81, v33, v56
	;; [unrolled: 1-line block ×3, first 2 shown]
	v_fma_f32 v32, 0x3f62ad3f, v29, -v50
	v_add_f32_e32 v30, v7, v21
	v_mul_f32_e32 v53, 0xbf52af12, v62
	v_fmamk_f32 v33, v27, 0x3f116cb1, v39
	v_add_f32_e32 v28, v4, v22
	v_mul_f32_e32 v40, 0xbf7e222b, v58
	v_sub_f32_e32 v63, v22, v4
	v_add_f32_e32 v32, v32, v1
	v_fma_f32 v34, 0x3f116cb1, v30, -v53
	v_add_f32_e32 v33, v33, v31
	v_fmamk_f32 v35, v28, 0x3df6dbef, v40
	v_add_f32_e32 v31, v5, v23
	v_mul_f32_e32 v44, 0xbf7e222b, v63
	v_sub_f32_e32 v59, v17, v11
	v_sub_f32_e32 v64, v16, v10
	v_add_f32_e32 v34, v34, v32
	v_add_f32_e32 v36, v35, v33
	v_fma_f32 v35, 0x3df6dbef, v31, -v44
	v_add_f32_e32 v32, v10, v16
	v_mul_f32_e32 v41, 0xbf6f5d39, v59
	v_add_f32_e32 v33, v11, v17
	v_mul_f32_e32 v45, 0xbf6f5d39, v64
	v_sub_f32_e32 v60, v19, v9
	v_sub_f32_e32 v65, v18, v8
	v_add_f32_e32 v37, v35, v34
	v_fmamk_f32 v43, v32, 0xbeb58ec6, v41
	v_fma_f32 v55, 0xbeb58ec6, v33, -v45
	v_add_f32_e32 v34, v8, v18
	v_mul_f32_e32 v42, 0xbf29c268, v60
	v_add_f32_e32 v35, v9, v19
	v_mul_f32_e32 v51, 0xbf29c268, v65
	v_sub_f32_e32 v56, v13, v15
	v_sub_f32_e32 v66, v12, v14
	v_add_f32_e32 v91, v43, v36
	v_add_f32_e32 v92, v55, v37
	v_fmamk_f32 v93, v34, 0xbf3f9e67, v42
	v_fma_f32 v94, 0xbf3f9e67, v35, -v51
	v_add_f32_e32 v36, v14, v12
	v_add_f32_e32 v37, v15, v13
	v_mul_f32_e32 v43, 0xbe750f2a, v56
	v_mul_lo_u16 v95, v157, 13
	v_mul_f32_e32 v55, 0xbe750f2a, v66
	v_add_co_u32 v52, null, v157, 13
	v_add_f32_e32 v91, v93, v91
	v_add_f32_e32 v92, v94, v92
	v_fmamk_f32 v93, v36, 0xbf788fa5, v43
	v_and_b32_e32 v94, 0xffff, v95
	v_fma_f32 v95, 0xbf788fa5, v37, -v55
	v_add_f32_e32 v87, v89, v87
	v_add_f32_e32 v88, v90, v88
	;; [unrolled: 1-line block ×3, first 2 shown]
	v_lshl_add_u32 v161, v94, 3, v158
	v_add_f32_e32 v152, v95, v92
	v_mul_u32_u24_e32 v159, 13, v52
	s_barrier
	buffer_gl0_inv
	ds_write2_b64 v161, v[46:47], v[24:25] offset1:1
	ds_write2_b64 v161, v[69:70], v[73:74] offset0:2 offset1:3
	ds_write2_b64 v161, v[77:78], v[81:82] offset0:4 offset1:5
	;; [unrolled: 1-line block ×5, first 2 shown]
	ds_write_b64 v161, v[67:68] offset:96
	s_and_saveexec_b32 s2, vcc_lo
	s_cbranch_execz .LBB0_7
; %bb.6:
	v_mul_f32_e32 v69, 0xbe750f2a, v61
	v_mul_f32_e32 v73, 0x3eedf032, v62
	;; [unrolled: 1-line block ×5, first 2 shown]
	v_fmamk_f32 v24, v29, 0xbf788fa5, v69
	v_fmamk_f32 v25, v30, 0x3f62ad3f, v73
	;; [unrolled: 1-line block ×3, first 2 shown]
	v_mul_f32_e32 v84, 0xbf6f5d39, v65
	v_mul_f32_e32 v86, 0x3eedf032, v57
	v_add_f32_e32 v24, v24, v1
	v_mul_f32_e32 v88, 0xbf29c268, v58
	v_add_f32_e32 v3, v3, v1
	v_add_f32_e32 v2, v2, v0
	v_fma_f32 v47, 0x3f62ad3f, v27, -v86
	v_add_f32_e32 v24, v25, v24
	v_fmamk_f32 v25, v33, 0x3f116cb1, v80
	v_mul_f32_e32 v90, 0xbf29c268, v61
	v_mul_f32_e32 v91, 0x3f52af12, v59
	;; [unrolled: 1-line block ×3, first 2 shown]
	v_add_f32_e32 v24, v46, v24
	v_fma_f32 v46, 0xbf788fa5, v26, -v83
	v_add_f32_e32 v3, v21, v3
	v_add_f32_e32 v2, v20, v2
	v_mul_f32_e32 v89, 0x3f7e222b, v66
	v_add_f32_e32 v24, v25, v24
	v_fmamk_f32 v25, v35, 0xbeb58ec6, v84
	v_add_f32_e32 v46, v46, v0
	v_fmamk_f32 v67, v29, 0xbf3f9e67, v90
	v_mul_f32_e32 v92, 0x3f7e222b, v62
	v_mul_f32_e32 v93, 0xbf6f5d39, v60
	v_add_f32_e32 v24, v25, v24
	v_add_f32_e32 v25, v47, v46
	v_fma_f32 v46, 0xbf3f9e67, v28, -v88
	v_mul_f32_e32 v74, 0x3f116cb1, v30
	v_add_f32_e32 v50, v50, v71
	v_add_f32_e32 v3, v23, v3
	;; [unrolled: 1-line block ×4, first 2 shown]
	v_fma_f32 v46, 0x3f116cb1, v32, -v91
	v_fmamk_f32 v47, v37, 0x3df6dbef, v89
	v_add_f32_e32 v67, v67, v1
	v_fmamk_f32 v68, v30, 0x3df6dbef, v92
	v_mul_f32_e32 v94, 0xbf52af12, v63
	v_add_f32_e32 v46, v46, v25
	v_fma_f32 v95, 0xbeb58ec6, v34, -v93
	v_mul_f32_e32 v77, 0x3df6dbef, v31
	v_add_f32_e32 v50, v50, v1
	v_add_f32_e32 v53, v53, v74
	;; [unrolled: 1-line block ×6, first 2 shown]
	v_fmamk_f32 v47, v31, 0x3f116cb1, v94
	v_mul_f32_e32 v96, 0x3e750f2a, v64
	v_add_f32_e32 v46, v95, v46
	v_mul_f32_e32 v95, 0x3f7e222b, v56
	v_mul_f32_e32 v97, 0xbf29c268, v54
	;; [unrolled: 1-line block ×4, first 2 shown]
	v_add_f32_e32 v50, v53, v50
	v_add_f32_e32 v44, v44, v77
	;; [unrolled: 1-line block ×5, first 2 shown]
	v_fmamk_f32 v47, v33, 0xbf788fa5, v96
	v_mul_f32_e32 v98, 0x3eedf032, v65
	v_fma_f32 v67, 0x3df6dbef, v36, -v95
	v_fma_f32 v68, 0xbf3f9e67, v26, -v97
	v_mul_f32_e32 v99, 0x3f7e222b, v57
	v_mul_f32_e32 v72, 0x3f116cb1, v27
	v_add_f32_e32 v44, v44, v50
	v_add_f32_e32 v22, v45, v79
	v_sub_f32_e32 v38, v70, v38
	v_add_f32_e32 v3, v13, v3
	v_add_f32_e32 v2, v12, v2
	;; [unrolled: 1-line block ×3, first 2 shown]
	v_fmamk_f32 v101, v35, 0x3f62ad3f, v98
	v_add_f32_e32 v24, v67, v46
	v_add_f32_e32 v46, v68, v0
	v_fma_f32 v67, 0x3df6dbef, v27, -v99
	v_mul_f32_e32 v102, 0xbf52af12, v58
	v_mul_f32_e32 v103, 0xbf6f5d39, v61
	;; [unrolled: 1-line block ×3, first 2 shown]
	v_add_f32_e32 v16, v22, v44
	v_add_f32_e32 v22, v38, v0
	v_sub_f32_e32 v18, v72, v39
	v_add_f32_e32 v3, v15, v3
	v_add_f32_e32 v2, v14, v2
	v_fma_f32 v14, 0xbf788fa5, v29, -v69
	v_add_f32_e32 v47, v101, v47
	v_mul_f32_e32 v101, 0xbf6f5d39, v66
	v_add_f32_e32 v46, v67, v46
	v_fma_f32 v67, 0x3f116cb1, v28, -v102
	v_mul_f32_e32 v104, 0x3e750f2a, v59
	v_fmamk_f32 v105, v29, 0xbeb58ec6, v103
	v_mul_f32_e32 v106, 0x3f29c268, v62
	v_mul_f32_e32 v78, 0xbeb58ec6, v32
	v_add_f32_e32 v12, v18, v22
	v_sub_f32_e32 v13, v75, v40
	v_add_f32_e32 v3, v9, v3
	v_add_f32_e32 v2, v8, v2
	;; [unrolled: 1-line block ×3, first 2 shown]
	v_fma_f32 v9, 0x3f62ad3f, v30, -v73
	v_fmamk_f32 v68, v37, 0xbeb58ec6, v101
	v_add_f32_e32 v46, v67, v46
	v_fma_f32 v67, 0xbf788fa5, v32, -v104
	v_mul_f32_e32 v107, 0x3eedf032, v60
	v_add_f32_e32 v105, v105, v1
	v_fmamk_f32 v108, v30, 0xbf3f9e67, v106
	v_mul_f32_e32 v109, 0x3eedf032, v63
	v_mul_f32_e32 v81, 0xbf3f9e67, v34
	v_add_f32_e32 v12, v13, v12
	v_sub_f32_e32 v13, v78, v41
	v_add_f32_e32 v3, v11, v3
	v_add_f32_e32 v2, v10, v2
	;; [unrolled: 1-line block ×3, first 2 shown]
	v_fma_f32 v9, 0xbf3f9e67, v31, -v76
	v_add_f32_e32 v46, v67, v46
	v_fma_f32 v67, 0x3f62ad3f, v34, -v107
	v_add_f32_e32 v47, v68, v47
	v_add_f32_e32 v68, v108, v105
	v_fmamk_f32 v105, v31, 0x3f62ad3f, v109
	v_mul_f32_e32 v108, 0xbf7e222b, v64
	v_mul_f32_e32 v110, 0xbf6f5d39, v56
	;; [unrolled: 1-line block ×4, first 2 shown]
	v_add_f32_e32 v12, v13, v12
	v_sub_f32_e32 v13, v81, v42
	v_add_f32_e32 v5, v5, v3
	v_add_f32_e32 v4, v4, v2
	;; [unrolled: 1-line block ×3, first 2 shown]
	v_fma_f32 v9, 0x3f116cb1, v33, -v80
	v_add_f32_e32 v46, v67, v46
	v_add_f32_e32 v67, v105, v68
	v_fmamk_f32 v68, v33, 0x3df6dbef, v108
	v_mul_f32_e32 v105, 0x3e750f2a, v65
	v_fma_f32 v112, 0xbeb58ec6, v36, -v110
	v_fma_f32 v113, 0xbeb58ec6, v26, -v111
	v_mul_f32_e32 v114, 0x3f29c268, v57
	v_add_f32_e32 v10, v13, v12
	v_sub_f32_e32 v11, v85, v43
	v_add_f32_e32 v5, v7, v5
	v_add_f32_e32 v4, v6, v4
	;; [unrolled: 1-line block ×3, first 2 shown]
	v_fma_f32 v7, 0xbeb58ec6, v35, -v84
	v_fmac_f32_e32 v83, 0xbf788fa5, v26
	v_fma_f32 v8, 0xbf3f9e67, v29, -v90
	v_add_f32_e32 v67, v68, v67
	v_fmamk_f32 v68, v35, 0xbf788fa5, v105
	v_add_f32_e32 v46, v112, v46
	v_add_f32_e32 v112, v113, v0
	v_fma_f32 v113, 0xbf3f9e67, v27, -v114
	v_mul_f32_e32 v115, 0x3eedf032, v58
	v_mul_f32_e32 v117, 0xbf7e222b, v61
	v_add_f32_e32 v2, v11, v10
	v_add_f32_e32 v6, v7, v6
	v_fma_f32 v7, 0x3df6dbef, v37, -v89
	v_add_f32_e32 v9, v83, v0
	v_fmac_f32_e32 v86, 0x3f62ad3f, v27
	v_add_f32_e32 v8, v8, v1
	v_fma_f32 v10, 0x3df6dbef, v30, -v92
	v_fmac_f32_e32 v97, 0xbf3f9e67, v26
	v_add_f32_e32 v67, v68, v67
	v_mul_f32_e32 v116, 0x3f52af12, v66
	v_add_f32_e32 v68, v113, v112
	v_fma_f32 v112, 0x3f62ad3f, v28, -v115
	v_mul_f32_e32 v113, 0xbf7e222b, v59
	v_fmamk_f32 v119, v29, 0x3df6dbef, v117
	v_mul_f32_e32 v153, 0xbe750f2a, v62
	v_add_f32_e32 v7, v7, v6
	v_add_f32_e32 v6, v86, v9
	;; [unrolled: 1-line block ×3, first 2 shown]
	v_fma_f32 v9, 0x3f116cb1, v31, -v94
	v_add_f32_e32 v10, v97, v0
	v_fmac_f32_e32 v99, 0x3df6dbef, v27
	v_fmamk_f32 v118, v37, 0x3f116cb1, v116
	v_add_f32_e32 v68, v112, v68
	v_fma_f32 v112, 0x3df6dbef, v32, -v113
	v_mul_f32_e32 v154, 0x3e750f2a, v60
	v_add_f32_e32 v119, v119, v1
	v_fmamk_f32 v160, v30, 0xbf788fa5, v153
	v_mul_f32_e32 v162, 0x3f6f5d39, v63
	v_add_f32_e32 v8, v9, v8
	v_fma_f32 v9, 0xbf788fa5, v33, -v96
	v_add_f32_e32 v10, v99, v10
	v_fmac_f32_e32 v102, 0x3f116cb1, v28
	v_add_f32_e32 v112, v112, v68
	v_fma_f32 v163, 0xbf788fa5, v34, -v154
	v_add_f32_e32 v68, v118, v67
	v_add_f32_e32 v67, v160, v119
	v_fmamk_f32 v118, v31, 0xbeb58ec6, v162
	v_mul_f32_e32 v119, 0x3eedf032, v64
	v_add_f32_e32 v8, v9, v8
	v_fma_f32 v9, 0x3f62ad3f, v35, -v98
	v_add_f32_e32 v10, v102, v10
	v_fmac_f32_e32 v104, 0xbf788fa5, v32
	v_add_f32_e32 v112, v163, v112
	v_mul_f32_e32 v160, 0xbf7e222b, v54
	v_mul_f32_e32 v163, 0x3f52af12, v56
	v_add_f32_e32 v67, v118, v67
	v_fmamk_f32 v118, v33, 0x3f62ad3f, v119
	v_mul_f32_e32 v164, 0xbf52af12, v65
	v_add_f32_e32 v8, v9, v8
	v_fma_f32 v9, 0xbeb58ec6, v37, -v101
	v_add_f32_e32 v10, v104, v10
	v_fmac_f32_e32 v107, 0x3f62ad3f, v34
	v_fma_f32 v11, 0xbeb58ec6, v29, -v103
	v_fmac_f32_e32 v111, 0xbeb58ec6, v26
	v_fma_f32 v165, 0x3df6dbef, v26, -v160
	v_mul_f32_e32 v166, 0xbe750f2a, v57
	v_fma_f32 v167, 0x3f116cb1, v36, -v163
	v_add_f32_e32 v118, v118, v67
	v_fmamk_f32 v168, v35, 0x3f116cb1, v164
	v_add_f32_e32 v9, v9, v8
	v_add_f32_e32 v8, v107, v10
	;; [unrolled: 1-line block ×3, first 2 shown]
	v_fma_f32 v11, 0xbf3f9e67, v30, -v106
	v_add_f32_e32 v12, v111, v0
	v_fmac_f32_e32 v114, 0xbf3f9e67, v27
	v_fma_f32 v13, 0x3df6dbef, v29, -v117
	v_add_f32_e32 v165, v165, v0
	v_fma_f32 v169, 0xbf788fa5, v27, -v166
	v_mul_f32_e32 v170, 0x3f6f5d39, v58
	v_add_f32_e32 v67, v167, v112
	v_add_f32_e32 v112, v168, v118
	v_mul_f32_e32 v118, 0xbf52af12, v61
	v_add_f32_e32 v10, v11, v10
	v_fma_f32 v11, 0x3f62ad3f, v31, -v109
	v_add_f32_e32 v12, v114, v12
	v_fmac_f32_e32 v115, 0x3f62ad3f, v28
	v_add_f32_e32 v13, v13, v1
	v_fma_f32 v14, 0xbf788fa5, v30, -v153
	v_add_f32_e32 v61, v169, v165
	v_fma_f32 v165, 0xbeb58ec6, v28, -v170
	v_mul_f32_e32 v167, 0x3eedf032, v59
	v_mul_f32_e32 v168, 0xbf29c268, v66
	v_fmamk_f32 v169, v29, 0x3f116cb1, v118
	v_mul_f32_e32 v171, 0xbf6f5d39, v62
	v_add_f32_e32 v10, v11, v10
	v_fma_f32 v11, 0x3df6dbef, v33, -v108
	v_add_f32_e32 v12, v115, v12
	v_fmac_f32_e32 v113, 0x3df6dbef, v32
	v_add_f32_e32 v13, v14, v13
	v_fma_f32 v14, 0xbeb58ec6, v31, -v162
	v_add_f32_e32 v61, v165, v61
	v_fma_f32 v62, 0x3f62ad3f, v32, -v167
	v_mul_f32_e32 v165, 0xbf52af12, v60
	v_add_f32_e32 v169, v169, v1
	v_fmamk_f32 v172, v30, 0xbeb58ec6, v171
	v_mul_f32_e32 v63, 0xbe750f2a, v63
	v_fmamk_f32 v173, v37, 0xbf3f9e67, v168
	v_add_f32_e32 v10, v11, v10
	v_fma_f32 v11, 0xbf788fa5, v35, -v105
	v_add_f32_e32 v12, v113, v12
	v_fmac_f32_e32 v154, 0xbf788fa5, v34
	v_add_f32_e32 v13, v14, v13
	v_fma_f32 v14, 0x3f62ad3f, v33, -v119
	v_add_f32_e32 v61, v62, v61
	v_fma_f32 v174, 0x3f116cb1, v34, -v165
	v_add_f32_e32 v169, v172, v169
	v_fmamk_f32 v172, v31, 0xbf788fa5, v63
	v_add_f32_e32 v62, v173, v112
	v_mul_f32_e32 v112, 0xbf52af12, v54
	v_add_f32_e32 v10, v11, v10
	v_fma_f32 v11, 0x3f116cb1, v37, -v116
	v_add_f32_e32 v12, v154, v12
	v_fmac_f32_e32 v163, 0x3f116cb1, v36
	v_add_f32_e32 v13, v14, v13
	v_fma_f32 v14, 0x3f116cb1, v35, -v164
	v_add_f32_e32 v54, v174, v61
	v_add_f32_e32 v61, v172, v169
	v_fma_f32 v172, 0x3f116cb1, v26, -v112
	v_mul_f32_e32 v57, 0xbf6f5d39, v57
	v_add_f32_e32 v11, v11, v10
	v_add_f32_e32 v10, v163, v12
	v_fmac_f32_e32 v160, 0x3df6dbef, v26
	v_add_f32_e32 v12, v14, v13
	v_fma_f32 v13, 0x3f116cb1, v29, -v118
	v_fmac_f32_e32 v112, 0x3f116cb1, v26
	v_add_f32_e32 v172, v172, v0
	v_fma_f32 v174, 0xbeb58ec6, v27, -v57
	v_mul_f32_e32 v58, 0xbe750f2a, v58
	v_add_f32_e32 v15, v160, v0
	v_fmac_f32_e32 v166, 0xbf788fa5, v27
	v_add_f32_e32 v1, v13, v1
	v_fma_f32 v13, 0xbeb58ec6, v30, -v171
	v_add_f32_e32 v0, v112, v0
	v_fmac_f32_e32 v57, 0xbeb58ec6, v27
	v_mul_f32_e32 v64, 0x3f29c268, v64
	v_add_f32_e32 v172, v174, v172
	v_fma_f32 v174, 0xbf788fa5, v28, -v58
	v_mul_f32_e32 v59, 0x3f29c268, v59
	v_fmac_f32_e32 v88, 0xbf3f9e67, v28
	v_mul_f32_e32 v82, 0xbf3f9e67, v35
	v_add_f32_e32 v15, v166, v15
	v_fmac_f32_e32 v170, 0xbeb58ec6, v28
	v_add_f32_e32 v1, v13, v1
	v_fma_f32 v13, 0xbf788fa5, v31, -v63
	v_add_f32_e32 v0, v57, v0
	v_fmac_f32_e32 v58, 0xbf788fa5, v28
	v_fmamk_f32 v169, v33, 0xbf3f9e67, v64
	v_mul_f32_e32 v65, 0x3f7e222b, v65
	v_add_f32_e32 v71, v174, v172
	v_fma_f32 v172, 0xbf3f9e67, v32, -v59
	v_mul_f32_e32 v60, 0x3f7e222b, v60
	v_add_f32_e32 v6, v88, v6
	v_fmac_f32_e32 v91, 0x3f116cb1, v32
	v_mul_f32_e32 v87, 0xbf788fa5, v37
	v_add_f32_e32 v17, v51, v82
	v_add_f32_e32 v15, v170, v15
	v_fmac_f32_e32 v167, 0x3f62ad3f, v32
	v_add_f32_e32 v1, v13, v1
	v_fma_f32 v13, 0xbf3f9e67, v33, -v64
	v_add_f32_e32 v0, v58, v0
	v_fmac_f32_e32 v59, 0xbf3f9e67, v32
	v_mul_f32_e32 v173, 0xbf29c268, v56
	v_add_f32_e32 v61, v169, v61
	v_fmamk_f32 v169, v35, 0x3df6dbef, v65
	v_mul_f32_e32 v66, 0x3eedf032, v66
	v_add_f32_e32 v71, v172, v71
	v_fma_f32 v74, 0x3df6dbef, v34, -v60
	v_mul_f32_e32 v21, 0x3eedf032, v56
	v_add_f32_e32 v6, v91, v6
	v_fmac_f32_e32 v93, 0xbeb58ec6, v34
	v_add_f32_e32 v16, v17, v16
	v_add_f32_e32 v17, v55, v87
	;; [unrolled: 1-line block ×3, first 2 shown]
	v_fmac_f32_e32 v165, 0x3f116cb1, v34
	v_add_f32_e32 v1, v13, v1
	v_fma_f32 v13, 0x3df6dbef, v35, -v65
	v_add_f32_e32 v0, v59, v0
	v_fmac_f32_e32 v60, 0x3df6dbef, v34
	v_fma_f32 v175, 0xbf3f9e67, v36, -v173
	v_add_f32_e32 v169, v169, v61
	v_fmamk_f32 v176, v37, 0x3f62ad3f, v66
	v_add_f32_e32 v20, v74, v71
	v_fma_f32 v23, 0x3f62ad3f, v36, -v21
	v_add_f32_e32 v6, v93, v6
	v_fmac_f32_e32 v95, 0x3df6dbef, v36
	v_fmac_f32_e32 v110, 0xbeb58ec6, v36
	v_add_f32_e32 v3, v17, v16
	v_add_f32_e32 v5, v49, v5
	;; [unrolled: 1-line block ×3, first 2 shown]
	v_fma_f32 v14, 0xbf3f9e67, v37, -v168
	v_add_f32_e32 v15, v165, v15
	v_fmac_f32_e32 v173, 0xbf3f9e67, v36
	v_add_f32_e32 v13, v13, v1
	v_fma_f32 v16, 0x3f62ad3f, v37, -v66
	v_add_f32_e32 v17, v60, v0
	v_fmac_f32_e32 v21, 0x3f62ad3f, v36
	v_lshl_add_u32 v18, v159, 3, v158
	v_add_f32_e32 v61, v175, v54
	v_add_f32_e32 v54, v176, v169
	v_add_f32_e32 v53, v23, v20
	v_add_f32_e32 v6, v95, v6
	v_add_f32_e32 v8, v110, v8
	v_add_f32_e32 v1, v14, v12
	v_add_f32_e32 v0, v173, v15
	v_add_f32_e32 v13, v16, v13
	v_add_f32_e32 v12, v21, v17
	ds_write2_b64 v18, v[4:5], v[2:3] offset1:1
	ds_write2_b64 v18, v[53:54], v[61:62] offset0:2 offset1:3
	ds_write2_b64 v18, v[67:68], v[46:47] offset0:4 offset1:5
	;; [unrolled: 1-line block ×5, first 2 shown]
	ds_write_b64 v18, v[151:152] offset:96
.LBB0_7:
	s_or_b32 exec_lo, exec_lo, s2
	v_add_co_u32 v44, null, v157, 26
	v_add_co_u32 v46, null, v157, 39
	;; [unrolled: 1-line block ×3, first 2 shown]
	v_and_b32_e32 v8, 0xff, v44
	v_and_b32_e32 v9, 0xff, v46
	v_lshlrev_b32_e32 v45, 5, v157
	v_and_b32_e32 v10, 0xff, v47
	s_waitcnt lgkmcnt(0)
	v_mul_lo_u16 v8, 0x4f, v8
	v_mul_lo_u16 v9, 0x4f, v9
	s_barrier
	buffer_gl0_inv
	s_clause 0x1
	global_load_dwordx4 v[4:7], v45, s[0:1]
	global_load_dwordx4 v[0:3], v45, s[0:1] offset:16
	v_lshrrev_b16 v8, 10, v8
	v_lshrrev_b16 v9, 10, v9
	v_add_nc_u32_e32 v101, 0x800, v156
	s_add_u32 s2, s6, 0xa28
	s_addc_u32 s3, s7, 0
	v_mul_lo_u16 v8, v8, 13
	v_mul_lo_u16 v9, v9, 13
	v_sub_nc_u16 v50, v44, v8
	v_mul_lo_u16 v8, 0x4f, v10
	v_sub_nc_u16 v48, v46, v9
	v_lshlrev_b16 v10, 2, v50
	v_lshrrev_b16 v8, 10, v8
	v_and_b32_e32 v50, 0xff, v50
	v_and_b32_e32 v9, 0xfc, v10
	v_mul_lo_u16 v8, v8, 13
	v_lshlrev_b16 v10, 2, v48
	v_lshlrev_b32_e32 v9, 3, v9
	v_sub_nc_u16 v49, v47, v8
	v_and_b32_e32 v8, 0xfc, v10
	global_load_dwordx4 v[28:31], v9, s[0:1]
	v_lshlrev_b16 v10, 2, v49
	v_lshlrev_b32_e32 v8, 3, v8
	global_load_dwordx4 v[24:27], v9, s[0:1] offset:16
	v_and_b32_e32 v49, 0xff, v49
	global_load_dwordx4 v[20:23], v8, s[0:1]
	v_and_b32_e32 v9, 0xfc, v10
	v_lshlrev_b32_e32 v9, 3, v9
	s_clause 0x2
	global_load_dwordx4 v[16:19], v8, s[0:1] offset:16
	global_load_dwordx4 v[12:15], v9, s[0:1]
	global_load_dwordx4 v[8:11], v9, s[0:1] offset:16
	ds_read2_b64 v[32:35], v156 offset0:52 offset1:65
	ds_read2_b64 v[53:56], v156 offset0:130 offset1:143
	;; [unrolled: 1-line block ×6, first 2 shown]
	ds_read2_b64 v[40:43], v156 offset1:13
	ds_read2_b64 v[36:39], v156 offset0:26 offset1:39
	ds_read2_b64 v[73:76], v156 offset0:156 offset1:169
	;; [unrolled: 1-line block ×4, first 2 shown]
	ds_read_b64 v[89:90], v156 offset:2496
	ds_read2_b64 v[85:88], v101 offset0:30 offset1:43
	s_waitcnt vmcnt(0) lgkmcnt(0)
	s_barrier
	buffer_gl0_inv
	v_mul_f32_e32 v51, v35, v5
	v_mul_f32_e32 v91, v34, v5
	;; [unrolled: 1-line block ×16, first 2 shown]
	v_fma_f32 v34, v34, v4, -v51
	v_fmac_f32_e32 v91, v35, v4
	v_fma_f32 v35, v53, v6, -v92
	v_fmac_f32_e32 v93, v54, v6
	v_fma_f32 v51, v59, v0, -v94
	v_fmac_f32_e32 v95, v60, v0
	v_fma_f32 v92, v61, v2, -v96
	v_fmac_f32_e32 v97, v62, v2
	v_fma_f32 v53, v65, v4, -v98
	v_fma_f32 v55, v55, v6, -v102
	;; [unrolled: 1-line block ×4, first 2 shown]
	v_fmac_f32_e32 v99, v66, v4
	v_fmac_f32_e32 v103, v56, v6
	;; [unrolled: 1-line block ×4, first 2 shown]
	v_add_f32_e32 v54, v40, v34
	v_add_f32_e32 v56, v35, v51
	;; [unrolled: 1-line block ×9, first 2 shown]
	v_sub_f32_e32 v59, v34, v35
	v_sub_f32_e32 v60, v92, v51
	;; [unrolled: 1-line block ×10, first 2 shown]
	v_add_f32_e32 v119, v103, v105
	v_sub_f32_e32 v153, v53, v69
	v_add_f32_e32 v165, v54, v35
	v_fma_f32 v34, -0.5, v56, v40
	v_fma_f32 v53, -0.5, v62, v40
	v_add_f32_e32 v56, v65, v93
	v_fma_f32 v35, -0.5, v94, v41
	v_fma_f32 v54, -0.5, v106, v41
	v_add_f32_e32 v62, v109, v55
	v_fma_f32 v40, -0.5, v110, v42
	v_sub_f32_e32 v64, v51, v92
	v_sub_f32_e32 v112, v103, v105
	v_add_f32_e32 v118, v43, v99
	v_add_f32_e32 v163, v99, v107
	v_fma_f32 v42, -0.5, v115, v42
	v_sub_f32_e32 v66, v91, v97
	v_sub_f32_e32 v70, v93, v95
	;; [unrolled: 1-line block ×7, first 2 shown]
	v_add_f32_e32 v166, v59, v60
	v_add_f32_e32 v93, v102, v104
	v_fma_f32 v41, -0.5, v119, v43
	v_add_f32_e32 v95, v56, v95
	v_fmamk_f32 v56, v96, 0xbf737871, v35
	v_fmac_f32_e32 v35, 0x3f737871, v96
	v_fmamk_f32 v60, v98, 0x3f737871, v54
	v_fmac_f32_e32 v54, 0xbf737871, v98
	v_add_f32_e32 v104, v62, v61
	v_fmamk_f32 v61, v111, 0x3f737871, v40
	v_fmac_f32_e32 v40, 0xbf737871, v111
	v_add_f32_e32 v167, v63, v64
	v_add_f32_e32 v64, v118, v103
	v_fmac_f32_e32 v43, -0.5, v163
	v_fmamk_f32 v63, v112, 0xbf737871, v42
	v_fmac_f32_e32 v42, 0x3f737871, v112
	v_sub_f32_e32 v160, v99, v103
	v_sub_f32_e32 v162, v107, v105
	v_add_f32_e32 v91, v91, v108
	v_add_f32_e32 v94, v113, v114
	;; [unrolled: 1-line block ×3, first 2 shown]
	v_fmamk_f32 v59, v70, 0xbf737871, v53
	v_fmac_f32_e32 v53, 0x3f737871, v70
	v_fmamk_f32 v62, v153, 0xbf737871, v41
	v_fmac_f32_e32 v41, 0x3f737871, v153
	v_fmac_f32_e32 v56, 0xbf167918, v98
	;; [unrolled: 1-line block ×7, first 2 shown]
	v_sub_f32_e32 v99, v103, v99
	v_sub_f32_e32 v164, v105, v107
	v_add_f32_e32 v102, v116, v117
	v_add_f32_e32 v105, v64, v105
	v_fmamk_f32 v64, v154, 0x3f737871, v43
	v_fmac_f32_e32 v43, 0xbf737871, v154
	v_fmac_f32_e32 v63, 0x3f167918, v111
	;; [unrolled: 1-line block ×3, first 2 shown]
	v_add_f32_e32 v103, v160, v162
	v_fmamk_f32 v55, v66, 0x3f737871, v34
	v_fmac_f32_e32 v34, 0xbf737871, v66
	v_add_f32_e32 v65, v51, v92
	v_fmac_f32_e32 v59, 0x3f167918, v66
	v_fmac_f32_e32 v53, 0xbf167918, v66
	v_add_f32_e32 v66, v95, v97
	v_fmac_f32_e32 v62, 0xbf167918, v154
	v_fmac_f32_e32 v41, 0x3f167918, v154
	;; [unrolled: 1-line block ×8, first 2 shown]
	v_mul_f32_e32 v51, v68, v29
	v_mul_f32_e32 v91, v67, v29
	;; [unrolled: 1-line block ×8, first 2 shown]
	v_add_f32_e32 v99, v99, v164
	v_add_f32_e32 v69, v104, v69
	v_fmac_f32_e32 v64, 0xbf167918, v153
	v_fmac_f32_e32 v43, 0x3f167918, v153
	;; [unrolled: 1-line block ×4, first 2 shown]
	v_mul_f32_e32 v98, v78, v21
	v_mul_f32_e32 v102, v76, v23
	;; [unrolled: 1-line block ×4, first 2 shown]
	v_fmac_f32_e32 v55, 0x3f167918, v70
	v_fmac_f32_e32 v34, 0xbf167918, v70
	v_add_f32_e32 v70, v105, v107
	v_fmac_f32_e32 v62, 0x3e9e377a, v103
	v_fmac_f32_e32 v41, 0x3e9e377a, v103
	v_mul_f32_e32 v103, v75, v23
	v_mul_f32_e32 v105, v81, v17
	;; [unrolled: 1-line block ×6, first 2 shown]
	v_fma_f32 v51, v67, v28, -v51
	v_fmac_f32_e32 v91, v68, v28
	v_fma_f32 v67, v73, v30, -v92
	v_fmac_f32_e32 v93, v74, v30
	;; [unrolled: 2-line block ×4, first 2 shown]
	v_fmac_f32_e32 v64, 0x3e9e377a, v99
	v_fmac_f32_e32 v43, 0x3e9e377a, v99
	v_mul_f32_e32 v99, v77, v21
	v_mul_f32_e32 v107, v87, v19
	v_fma_f32 v68, v77, v20, -v98
	v_fma_f32 v71, v75, v22, -v102
	;; [unrolled: 1-line block ×4, first 2 shown]
	v_mul_f32_e32 v113, v83, v9
	v_mul_f32_e32 v114, v90, v11
	v_fmac_f32_e32 v103, v76, v22
	v_fmac_f32_e32 v105, v82, v16
	v_fma_f32 v72, v79, v12, -v108
	v_fma_f32 v74, v57, v14, -v110
	v_fmac_f32_e32 v111, v58, v14
	v_fma_f32 v81, v83, v8, -v112
	v_add_f32_e32 v57, v36, v51
	v_add_f32_e32 v58, v67, v73
	v_sub_f32_e32 v75, v51, v67
	v_sub_f32_e32 v76, v85, v73
	v_add_f32_e32 v82, v37, v91
	v_add_f32_e32 v83, v93, v95
	;; [unrolled: 1-line block ×3, first 2 shown]
	v_mul_f32_e32 v109, v79, v13
	v_mul_f32_e32 v115, v89, v11
	v_fmac_f32_e32 v99, v78, v20
	v_fmac_f32_e32 v107, v88, v18
	v_add_f32_e32 v78, v51, v85
	v_add_f32_e32 v98, v38, v68
	;; [unrolled: 1-line block ×4, first 2 shown]
	v_fmac_f32_e32 v113, v84, v8
	v_fma_f32 v84, v89, v10, -v114
	v_sub_f32_e32 v79, v67, v51
	v_sub_f32_e32 v51, v51, v85
	;; [unrolled: 1-line block ×3, first 2 shown]
	v_add_f32_e32 v164, v32, v72
	v_add_f32_e32 v178, v57, v67
	v_fma_f32 v57, -0.5, v58, v36
	v_add_f32_e32 v179, v75, v76
	v_add_f32_e32 v76, v82, v93
	v_fma_f32 v58, -0.5, v83, v37
	v_fma_f32 v37, -0.5, v94, v37
	v_fmac_f32_e32 v109, v80, v12
	v_fmac_f32_e32 v115, v90, v10
	v_sub_f32_e32 v80, v73, v85
	v_sub_f32_e32 v90, v91, v93
	;; [unrolled: 1-line block ×7, first 2 shown]
	v_fma_f32 v36, -0.5, v78, v36
	v_add_f32_e32 v78, v98, v71
	v_fma_f32 v67, -0.5, v102, v38
	v_fma_f32 v38, -0.5, v112, v38
	v_add_f32_e32 v118, v103, v105
	v_add_f32_e32 v117, v39, v99
	;; [unrolled: 1-line block ×3, first 2 shown]
	v_sub_f32_e32 v86, v91, v97
	v_sub_f32_e32 v88, v93, v95
	;; [unrolled: 1-line block ×4, first 2 shown]
	v_add_f32_e32 v165, v74, v81
	v_sub_f32_e32 v168, v72, v74
	v_add_f32_e32 v170, v72, v84
	v_sub_f32_e32 v171, v74, v72
	;; [unrolled: 2-line block ×3, first 2 shown]
	v_add_f32_e32 v82, v164, v74
	v_add_f32_e32 v95, v76, v95
	v_fmamk_f32 v74, v51, 0xbf737871, v58
	v_fmac_f32_e32 v58, 0x3f737871, v51
	v_fmamk_f32 v76, v89, 0x3f737871, v37
	v_fmac_f32_e32 v37, 0xbf737871, v89
	v_sub_f32_e32 v114, v71, v68
	v_sub_f32_e32 v116, v77, v87
	;; [unrolled: 1-line block ×3, first 2 shown]
	v_add_f32_e32 v177, v109, v115
	v_add_f32_e32 v180, v79, v80
	;; [unrolled: 1-line block ×5, first 2 shown]
	v_fmamk_f32 v77, v104, 0x3f737871, v67
	v_fmac_f32_e32 v67, 0xbf737871, v104
	v_fmamk_f32 v79, v106, 0xbf737871, v38
	v_fmac_f32_e32 v38, 0x3f737871, v106
	v_sub_f32_e32 v119, v68, v87
	v_fma_f32 v68, -0.5, v118, v39
	v_add_f32_e32 v80, v117, v103
	v_fmac_f32_e32 v39, -0.5, v162
	v_fmac_f32_e32 v55, 0x3e9e377a, v166
	v_fmac_f32_e32 v34, 0x3e9e377a, v166
	;; [unrolled: 1-line block ×4, first 2 shown]
	v_sub_f32_e32 v166, v109, v115
	v_sub_f32_e32 v167, v111, v113
	v_add_f32_e32 v173, v33, v109
	v_sub_f32_e32 v175, v72, v84
	v_add_f32_e32 v91, v91, v96
	v_fma_f32 v71, -0.5, v165, v32
	v_fma_f32 v32, -0.5, v170, v32
	;; [unrolled: 1-line block ×3, first 2 shown]
	v_fmac_f32_e32 v74, 0xbf167918, v89
	v_fmac_f32_e32 v58, 0x3f167918, v89
	;; [unrolled: 1-line block ×4, first 2 shown]
	v_sub_f32_e32 v154, v99, v103
	v_sub_f32_e32 v99, v103, v99
	v_add_f32_e32 v93, v114, v116
	v_add_f32_e32 v103, v178, v73
	v_fmamk_f32 v73, v86, 0x3f737871, v57
	v_fmac_f32_e32 v57, 0xbf737871, v86
	v_add_f32_e32 v110, v82, v81
	v_fmac_f32_e32 v77, 0x3f167918, v106
	v_fmac_f32_e32 v67, 0xbf167918, v106
	;; [unrolled: 1-line block ×4, first 2 shown]
	v_fmac_f32_e32 v33, -0.5, v177
	v_sub_f32_e32 v160, v107, v105
	v_fmamk_f32 v75, v88, 0xbf737871, v36
	v_fmac_f32_e32 v36, 0x3f737871, v88
	v_fmamk_f32 v78, v119, 0xbf737871, v68
	v_sub_f32_e32 v163, v105, v107
	v_add_f32_e32 v105, v80, v105
	v_fmamk_f32 v80, v153, 0x3f737871, v39
	v_fmac_f32_e32 v39, 0xbf737871, v153
	v_fmac_f32_e32 v68, 0x3f737871, v119
	v_sub_f32_e32 v169, v84, v81
	v_sub_f32_e32 v172, v81, v84
	v_add_f32_e32 v102, v173, v111
	v_fmamk_f32 v81, v166, 0x3f737871, v71
	v_fmamk_f32 v83, v167, 0xbf737871, v32
	v_fmac_f32_e32 v32, 0x3f737871, v167
	v_fmamk_f32 v82, v175, 0xbf737871, v72
	v_fmac_f32_e32 v74, 0x3e9e377a, v90
	v_fmac_f32_e32 v58, 0x3e9e377a, v90
	;; [unrolled: 1-line block ×4, first 2 shown]
	v_sub_f32_e32 v90, v109, v111
	v_sub_f32_e32 v91, v115, v113
	v_fmac_f32_e32 v71, 0xbf737871, v166
	v_fmac_f32_e32 v73, 0x3f167918, v88
	;; [unrolled: 1-line block ×3, first 2 shown]
	v_add_f32_e32 v89, v110, v84
	v_fmac_f32_e32 v77, 0x3e9e377a, v92
	v_fmac_f32_e32 v67, 0x3e9e377a, v92
	;; [unrolled: 1-line block ×5, first 2 shown]
	v_fmamk_f32 v84, v176, 0x3f737871, v33
	v_sub_f32_e32 v92, v111, v109
	v_sub_f32_e32 v93, v113, v115
	v_fmac_f32_e32 v33, 0xbf737871, v176
	v_add_f32_e32 v94, v154, v160
	v_fmac_f32_e32 v75, 0x3f167918, v86
	v_fmac_f32_e32 v36, 0xbf167918, v86
	;; [unrolled: 1-line block ×3, first 2 shown]
	ds_write2_b64 v156, v[34:35], v[69:70] offset0:52 offset1:65
	v_and_b32_e32 v34, 0xff, v48
	v_add_f32_e32 v96, v99, v163
	v_fmac_f32_e32 v80, 0xbf167918, v119
	v_fmac_f32_e32 v39, 0x3f167918, v119
	;; [unrolled: 1-line block ×3, first 2 shown]
	v_add_f32_e32 v98, v168, v169
	v_add_f32_e32 v99, v171, v172
	v_fmac_f32_e32 v81, 0x3f167918, v167
	v_fmac_f32_e32 v32, 0xbf167918, v166
	v_add_f32_e32 v51, v102, v113
	v_fmac_f32_e32 v82, 0xbf167918, v176
	v_add_f32_e32 v91, v90, v91
	v_lshl_add_u32 v162, v49, 3, v158
	v_add_f32_e32 v85, v103, v85
	v_add_f32_e32 v86, v95, v97
	v_fmac_f32_e32 v71, 0xbf167918, v167
	v_fmac_f32_e32 v83, 0x3f167918, v166
	v_fmac_f32_e32 v73, 0x3e9e377a, v179
	v_fmac_f32_e32 v57, 0x3e9e377a, v179
	v_fmac_f32_e32 v72, 0x3f167918, v176
	v_fmac_f32_e32 v84, 0xbf167918, v175
	v_add_f32_e32 v92, v92, v93
	v_fmac_f32_e32 v33, 0x3f167918, v175
	v_lshl_add_u32 v163, v50, 3, v158
	v_add_f32_e32 v87, v108, v87
	v_add_f32_e32 v88, v105, v107
	v_fmac_f32_e32 v75, 0x3e9e377a, v180
	v_fmac_f32_e32 v36, 0x3e9e377a, v180
	;; [unrolled: 1-line block ×3, first 2 shown]
	v_lshl_add_u32 v164, v34, 3, v158
	v_fmac_f32_e32 v80, 0x3e9e377a, v96
	v_fmac_f32_e32 v39, 0x3e9e377a, v96
	;; [unrolled: 1-line block ×5, first 2 shown]
	v_add_f32_e32 v90, v51, v115
	v_fmac_f32_e32 v82, 0x3e9e377a, v91
	v_add_nc_u32_e32 v34, 0x800, v162
	v_fmac_f32_e32 v71, 0x3e9e377a, v98
	v_fmac_f32_e32 v83, 0x3e9e377a, v99
	;; [unrolled: 1-line block ×5, first 2 shown]
	ds_write2_b64 v156, v[65:66], v[55:56] offset1:13
	ds_write2_b64 v156, v[59:60], v[53:54] offset0:26 offset1:39
	ds_write2_b64 v156, v[61:62], v[63:64] offset0:78 offset1:91
	;; [unrolled: 1-line block ×5, first 2 shown]
	ds_write_b64 v163, v[57:58] offset:1456
	ds_write2_b64 v164, v[87:88], v[77:78] offset0:195 offset1:208
	ds_write2_b64 v164, v[79:80], v[38:39] offset0:221 offset1:234
	ds_write_b64 v164, v[67:68] offset:1976
	ds_write2_b64 v34, v[89:90], v[81:82] offset0:4 offset1:17
	ds_write2_b64 v34, v[83:84], v[32:33] offset0:30 offset1:43
	ds_write_b64 v162, v[71:72] offset:2496
	v_lshlrev_b32_e32 v32, 5, v52
	v_lshlrev_b32_e32 v33, 5, v44
	s_waitcnt lgkmcnt(0)
	s_barrier
	buffer_gl0_inv
	s_clause 0x4
	global_load_dwordx4 v[56:59], v45, s[0:1] offset:416
	global_load_dwordx4 v[64:67], v45, s[0:1] offset:432
	;; [unrolled: 1-line block ×5, first 2 shown]
	v_lshlrev_b32_e32 v32, 5, v46
	s_clause 0x1
	global_load_dwordx4 v[60:63], v33, s[0:1] offset:432
	global_load_dwordx4 v[36:39], v32, s[0:1] offset:416
	v_lshlrev_b32_e32 v33, 5, v47
	s_clause 0x2
	global_load_dwordx4 v[48:51], v32, s[0:1] offset:432
	global_load_dwordx4 v[44:47], v33, s[0:1] offset:416
	;; [unrolled: 1-line block ×3, first 2 shown]
	ds_read2_b64 v[72:75], v156 offset0:52 offset1:65
	ds_read2_b64 v[80:83], v156 offset0:130 offset1:143
	;; [unrolled: 1-line block ×6, first 2 shown]
	ds_read2_b64 v[94:97], v156 offset1:13
	ds_read2_b64 v[76:79], v156 offset0:26 offset1:39
	ds_read2_b64 v[165:168], v156 offset0:156 offset1:169
	;; [unrolled: 1-line block ×5, first 2 shown]
	ds_read_b64 v[84:85], v156 offset:2496
	s_waitcnt vmcnt(9) lgkmcnt(12)
	v_mul_f32_e32 v91, v75, v57
	v_mul_f32_e32 v153, v74, v57
	s_waitcnt lgkmcnt(11)
	v_mul_f32_e32 v93, v81, v59
	v_mul_f32_e32 v154, v80, v59
	s_waitcnt vmcnt(8) lgkmcnt(10)
	v_mul_f32_e32 v104, v90, v65
	v_mul_f32_e32 v160, v89, v65
	s_waitcnt lgkmcnt(9)
	v_mul_f32_e32 v105, v109, v67
	v_mul_f32_e32 v181, v108, v67
	s_waitcnt vmcnt(7) lgkmcnt(8)
	v_mul_f32_e32 v182, v113, v41
	s_waitcnt vmcnt(5)
	v_mul_f32_e32 v191, v114, v53
	s_waitcnt vmcnt(4) lgkmcnt(3)
	v_mul_f32_e32 v197, v169, v63
	v_mul_f32_e32 v184, v83, v43
	;; [unrolled: 1-line block ×9, first 2 shown]
	s_waitcnt vmcnt(3) lgkmcnt(2)
	v_mul_f32_e32 v198, v174, v37
	s_waitcnt vmcnt(0) lgkmcnt(0)
	v_mul_f32_e32 v205, v85, v35
	v_fma_f32 v74, v74, v56, -v91
	v_fmac_f32_e32 v153, v75, v56
	v_fma_f32 v75, v80, v58, -v93
	v_fmac_f32_e32 v154, v81, v58
	;; [unrolled: 2-line block ×5, first 2 shown]
	v_fmac_f32_e32 v197, v170, v62
	v_mul_f32_e32 v183, v112, v41
	v_mul_f32_e32 v187, v116, v69
	;; [unrolled: 1-line block ×12, first 2 shown]
	v_fma_f32 v81, v82, v42, -v184
	v_fmac_f32_e32 v185, v83, v42
	v_fma_f32 v90, v116, v68, -v186
	v_fma_f32 v182, v110, v70, -v188
	v_fmac_f32_e32 v189, v111, v70
	v_fma_f32 v83, v165, v54, -v192
	v_fmac_f32_e32 v193, v166, v54
	v_fma_f32 v165, v118, v60, -v194
	v_fma_f32 v108, v173, v36, -v198
	;; [unrolled: 1-line block ×3, first 2 shown]
	v_add_f32_e32 v84, v94, v74
	v_sub_f32_e32 v109, v74, v75
	v_sub_f32_e32 v110, v91, v89
	v_add_f32_e32 v111, v74, v91
	v_add_f32_e32 v115, v154, v160
	;; [unrolled: 1-line block ×5, first 2 shown]
	v_mul_f32_e32 v200, v178, v49
	v_mul_f32_e32 v107, v171, v51
	;; [unrolled: 1-line block ×6, first 2 shown]
	v_fmac_f32_e32 v183, v113, v40
	v_fmac_f32_e32 v187, v117, v68
	v_fma_f32 v82, v114, v52, -v190
	v_fmac_f32_e32 v195, v119, v60
	v_fma_f32 v184, v169, v62, -v196
	;; [unrolled: 2-line block ×3, first 2 shown]
	v_fmac_f32_e32 v92, v168, v38
	v_fmac_f32_e32 v106, v178, v48
	v_fma_f32 v178, v171, v50, -v201
	v_fma_f32 v93, v175, v44, -v202
	v_fmac_f32_e32 v103, v85, v34
	v_add_f32_e32 v85, v75, v89
	v_sub_f32_e32 v112, v75, v74
	v_add_f32_e32 v114, v95, v153
	v_sub_f32_e32 v171, v75, v89
	v_sub_f32_e32 v116, v153, v154
	;; [unrolled: 1-line block ×3, first 2 shown]
	v_add_f32_e32 v167, v81, v90
	v_sub_f32_e32 v168, v80, v81
	v_sub_f32_e32 v169, v182, v90
	;; [unrolled: 1-line block ×5, first 2 shown]
	v_add_f32_e32 v215, v78, v108
	v_add_f32_e32 v75, v84, v75
	;; [unrolled: 1-line block ×3, first 2 shown]
	v_fma_f32 v109, -0.5, v115, v95
	v_fma_f32 v110, -0.5, v111, v94
	;; [unrolled: 1-line block ×3, first 2 shown]
	v_add_f32_e32 v95, v166, v81
	v_fma_f32 v81, -0.5, v213, v77
	v_mul_f32_e32 v203, v88, v47
	v_fma_f32 v177, v177, v48, -v200
	v_fmac_f32_e32 v107, v172, v50
	v_fmac_f32_e32 v98, v176, v44
	;; [unrolled: 1-line block ×3, first 2 shown]
	v_fma_f32 v104, v179, v32, -v204
	v_fmac_f32_e32 v102, v180, v32
	v_sub_f32_e32 v88, v153, v181
	v_sub_f32_e32 v113, v89, v91
	;; [unrolled: 1-line block ×5, first 2 shown]
	v_add_f32_e32 v174, v80, v182
	v_sub_f32_e32 v176, v90, v182
	v_add_f32_e32 v180, v185, v187
	v_sub_f32_e32 v188, v80, v182
	v_sub_f32_e32 v80, v183, v185
	;; [unrolled: 1-line block ×3, first 2 shown]
	v_add_f32_e32 v194, v183, v189
	v_add_f32_e32 v198, v76, v82
	v_add_f32_e32 v199, v83, v165
	v_sub_f32_e32 v200, v191, v197
	v_add_f32_e32 v204, v82, v184
	v_add_f32_e32 v207, v77, v191
	;; [unrolled: 1-line block ×3, first 2 shown]
	v_sub_f32_e32 v209, v82, v184
	v_sub_f32_e32 v211, v191, v193
	;; [unrolled: 1-line block ×4, first 2 shown]
	v_add_f32_e32 v224, v79, v86
	v_add_f32_e32 v225, v92, v106
	v_add_f32_e32 v229, v116, v117
	v_add_f32_e32 v230, v168, v169
	v_add_f32_e32 v169, v215, v186
	v_add_f32_e32 v75, v75, v89
	v_fmamk_f32 v117, v171, 0x3f737871, v111
	v_fmac_f32_e32 v111, 0xbf737871, v171
	v_fmamk_f32 v168, v210, 0x3f737871, v81
	v_fmac_f32_e32 v81, 0xbf737871, v210
	v_sub_f32_e32 v170, v154, v160
	v_add_f32_e32 v179, v97, v183
	v_sub_f32_e32 v201, v193, v195
	v_sub_f32_e32 v202, v82, v83
	;; [unrolled: 1-line block ×4, first 2 shown]
	v_add_f32_e32 v221, v108, v178
	v_sub_f32_e32 v222, v186, v108
	v_sub_f32_e32 v226, v108, v178
	v_add_f32_e32 v228, v112, v113
	v_add_f32_e32 v154, v114, v154
	v_fma_f32 v108, -0.5, v85, v94
	v_add_f32_e32 v94, v119, v153
	v_add_f32_e32 v175, v175, v176
	v_fma_f32 v113, -0.5, v180, v97
	v_add_f32_e32 v176, v80, v192
	v_fmac_f32_e32 v97, -0.5, v194
	v_add_f32_e32 v166, v198, v83
	v_fma_f32 v82, -0.5, v199, v76
	v_fma_f32 v80, -0.5, v204, v76
	v_add_f32_e32 v76, v207, v193
	v_fma_f32 v83, -0.5, v208, v77
	v_add_f32_e32 v77, v191, v214
	v_add_f32_e32 v193, v224, v92
	v_fma_f32 v85, -0.5, v225, v79
	v_fmamk_f32 v115, v74, 0xbf737871, v109
	v_fmac_f32_e32 v109, 0x3f737871, v74
	v_add_f32_e32 v95, v95, v90
	v_add_f32_e32 v194, v169, v177
	;; [unrolled: 1-line block ×3, first 2 shown]
	v_fmac_f32_e32 v117, 0xbf167918, v74
	v_fmac_f32_e32 v111, 0x3f167918, v74
	;; [unrolled: 1-line block ×4, first 2 shown]
	v_add_f32_e32 v75, v86, v107
	v_fma_f32 v87, v87, v46, -v203
	v_fmamk_f32 v114, v88, 0x3f737871, v108
	v_fmac_f32_e32 v108, 0xbf737871, v88
	v_add_f32_e32 v89, v154, v160
	v_fmac_f32_e32 v115, 0xbf167918, v171
	v_fmac_f32_e32 v109, 0x3f167918, v171
	v_add_f32_e32 v171, v95, v182
	v_fmac_f32_e32 v117, 0x3e9e377a, v94
	v_fmac_f32_e32 v111, 0x3e9e377a, v94
	;; [unrolled: 1-line block ×4, first 2 shown]
	v_add_f32_e32 v74, v193, v106
	v_fmamk_f32 v91, v226, 0xbf737871, v85
	v_sub_f32_e32 v94, v186, v177
	v_sub_f32_e32 v77, v86, v92
	;; [unrolled: 1-line block ×3, first 2 shown]
	v_fmac_f32_e32 v79, -0.5, v75
	v_fmac_f32_e32 v85, 0x3f737871, v226
	v_sub_f32_e32 v173, v185, v187
	v_sub_f32_e32 v217, v86, v107
	;; [unrolled: 1-line block ×3, first 2 shown]
	v_fma_f32 v112, -0.5, v167, v96
	v_fma_f32 v96, -0.5, v174, v96
	v_add_f32_e32 v119, v179, v185
	v_fmamk_f32 v116, v170, 0xbf737871, v110
	v_fmac_f32_e32 v110, 0x3f737871, v170
	v_fmac_f32_e32 v114, 0x3f167918, v170
	;; [unrolled: 1-line block ×3, first 2 shown]
	v_add_f32_e32 v170, v89, v181
	v_add_f32_e32 v89, v74, v107
	v_fmac_f32_e32 v91, 0xbf167918, v94
	v_add_f32_e32 v75, v77, v95
	v_fmamk_f32 v77, v94, 0x3f737871, v79
	v_sub_f32_e32 v74, v92, v86
	v_sub_f32_e32 v86, v106, v107
	v_fmac_f32_e32 v85, 0x3f167918, v94
	v_add_f32_e32 v92, v87, v104
	v_fmac_f32_e32 v79, 0xbf737871, v94
	v_add_f32_e32 v94, v72, v93
	v_sub_f32_e32 v172, v183, v189
	v_fmamk_f32 v153, v173, 0xbf737871, v96
	v_fmac_f32_e32 v96, 0x3f737871, v173
	v_add_f32_e32 v160, v119, v187
	v_fmac_f32_e32 v91, 0x3e9e377a, v75
	v_add_f32_e32 v86, v74, v86
	v_fma_f32 v74, -0.5, v92, v72
	v_sub_f32_e32 v95, v98, v103
	v_fmac_f32_e32 v85, 0x3e9e377a, v75
	v_add_f32_e32 v75, v94, v87
	v_fmamk_f32 v118, v172, 0x3f737871, v112
	v_fmac_f32_e32 v112, 0xbf737871, v172
	v_fmac_f32_e32 v153, 0x3f167918, v172
	v_fmac_f32_e32 v96, 0xbf167918, v172
	v_add_f32_e32 v172, v160, v189
	v_fmac_f32_e32 v77, 0xbf167918, v226
	v_fmac_f32_e32 v79, 0x3f167918, v226
	v_fmamk_f32 v92, v95, 0x3f737871, v74
	v_sub_f32_e32 v106, v99, v102
	v_sub_f32_e32 v94, v93, v87
	;; [unrolled: 1-line block ×3, first 2 shown]
	v_fmac_f32_e32 v74, 0xbf737871, v95
	v_add_f32_e32 v160, v93, v105
	v_add_f32_e32 v75, v75, v104
	v_fmac_f32_e32 v77, 0x3e9e377a, v86
	v_fmac_f32_e32 v92, 0x3f167918, v106
	v_add_f32_e32 v94, v94, v107
	v_fmac_f32_e32 v74, 0xbf167918, v106
	v_fma_f32 v72, -0.5, v160, v72
	v_fmac_f32_e32 v79, 0x3e9e377a, v86
	v_add_f32_e32 v86, v75, v105
	v_add_f32_e32 v75, v73, v98
	v_fmac_f32_e32 v92, 0x3e9e377a, v94
	v_fmac_f32_e32 v74, 0x3e9e377a, v94
	v_fmamk_f32 v94, v106, 0xbf737871, v72
	v_fmac_f32_e32 v72, 0x3f737871, v106
	v_add_f32_e32 v106, v75, v99
	v_add_f32_e32 v107, v99, v102
	;; [unrolled: 1-line block ×3, first 2 shown]
	v_fmac_f32_e32 v94, 0x3f167918, v95
	v_fmac_f32_e32 v72, 0xbf167918, v95
	v_add_f32_e32 v95, v106, v102
	v_add_f32_e32 v106, v98, v103
	v_fmac_f32_e32 v153, 0x3e9e377a, v175
	v_fmac_f32_e32 v96, 0x3e9e377a, v175
	v_sub_f32_e32 v160, v87, v93
	v_sub_f32_e32 v175, v104, v105
	v_fma_f32 v75, -0.5, v107, v73
	v_sub_f32_e32 v104, v87, v104
	v_fmac_f32_e32 v73, -0.5, v106
	v_fma_f32 v84, -0.5, v216, v78
	v_fma_f32 v78, -0.5, v221, v78
	v_fmamk_f32 v119, v188, 0xbf737871, v113
	v_sub_f32_e32 v183, v185, v183
	v_sub_f32_e32 v196, v187, v189
	v_fmamk_f32 v154, v190, 0x3f737871, v97
	v_fmac_f32_e32 v97, 0xbf737871, v190
	v_sub_f32_e32 v105, v93, v105
	v_add_f32_e32 v107, v160, v175
	v_fmac_f32_e32 v113, 0x3f737871, v188
	v_add_f32_e32 v87, v95, v103
	v_sub_f32_e32 v106, v98, v99
	v_fmamk_f32 v95, v104, 0x3f737871, v73
	v_sub_f32_e32 v98, v99, v98
	v_sub_f32_e32 v99, v102, v103
	v_fmac_f32_e32 v73, 0xbf737871, v104
	v_sub_f32_e32 v203, v184, v165
	v_sub_f32_e32 v206, v165, v184
	;; [unrolled: 1-line block ×5, first 2 shown]
	v_add_f32_e32 v174, v166, v165
	v_fmamk_f32 v165, v200, 0x3f737871, v82
	v_fmamk_f32 v167, v201, 0xbf737871, v80
	v_fmac_f32_e32 v80, 0x3f737871, v201
	v_add_f32_e32 v187, v76, v195
	v_fmamk_f32 v166, v209, 0xbf737871, v83
	v_fmamk_f32 v90, v217, 0x3f737871, v84
	;; [unrolled: 1-line block ×3, first 2 shown]
	v_fmac_f32_e32 v78, 0x3f737871, v218
	v_fmac_f32_e32 v82, 0xbf737871, v200
	;; [unrolled: 1-line block ×6, first 2 shown]
	v_add_f32_e32 v179, v183, v196
	v_fmac_f32_e32 v116, 0x3f167918, v88
	v_fmac_f32_e32 v154, 0xbf167918, v188
	;; [unrolled: 1-line block ×4, first 2 shown]
	v_fmamk_f32 v93, v105, 0xbf737871, v75
	v_fmac_f32_e32 v94, 0x3e9e377a, v107
	v_fmac_f32_e32 v72, 0x3e9e377a, v107
	v_sub_f32_e32 v107, v103, v102
	v_fmac_f32_e32 v112, 0xbf167918, v173
	v_fmac_f32_e32 v113, 0x3f167918, v190
	;; [unrolled: 1-line block ×4, first 2 shown]
	v_add_f32_e32 v98, v98, v99
	v_fmac_f32_e32 v73, 0x3f167918, v105
	v_lshl_add_u32 v160, v157, 3, v158
	v_add_f32_e32 v180, v202, v203
	v_add_f32_e32 v183, v205, v206
	;; [unrolled: 1-line block ×5, first 2 shown]
	v_fmac_f32_e32 v165, 0x3f167918, v201
	v_fmac_f32_e32 v167, 0x3f167918, v200
	v_fmac_f32_e32 v80, 0xbf167918, v200
	v_fmac_f32_e32 v166, 0xbf167918, v210
	v_fmac_f32_e32 v90, 0x3f167918, v218
	v_fmac_f32_e32 v76, 0x3f167918, v217
	v_fmac_f32_e32 v78, 0xbf167918, v217
	v_fmac_f32_e32 v82, 0xbf167918, v201
	v_fmac_f32_e32 v83, 0x3f167918, v210
	v_fmac_f32_e32 v84, 0xbf167918, v218
	v_fmac_f32_e32 v114, 0x3e9e377a, v227
	v_fmac_f32_e32 v115, 0x3e9e377a, v229
	v_fmac_f32_e32 v118, 0x3e9e377a, v230
	v_fmac_f32_e32 v119, 0x3e9e377a, v176
	v_fmac_f32_e32 v116, 0x3e9e377a, v228
	v_fmac_f32_e32 v154, 0x3e9e377a, v179
	v_fmac_f32_e32 v110, 0x3e9e377a, v228
	v_fmac_f32_e32 v97, 0x3e9e377a, v179
	v_fmac_f32_e32 v93, 0xbf167918, v104
	v_add_f32_e32 v102, v106, v107
	v_fmac_f32_e32 v108, 0x3e9e377a, v227
	v_fmac_f32_e32 v109, 0x3e9e377a, v229
	;; [unrolled: 1-line block ×7, first 2 shown]
	v_add_nc_u32_e32 v98, 0x800, v160
	v_add_f32_e32 v173, v174, v184
	v_add_f32_e32 v174, v187, v197
	v_fmac_f32_e32 v165, 0x3e9e377a, v180
	v_fmac_f32_e32 v167, 0x3e9e377a, v183
	;; [unrolled: 1-line block ×7, first 2 shown]
	ds_write_b64 v156, v[169:170]
	ds_write2_b64 v160, v[114:115], v[118:119] offset0:65 offset1:78
	ds_write2_b64 v160, v[116:117], v[153:154] offset0:130 offset1:143
	;; [unrolled: 1-line block ×7, first 2 shown]
	v_add_co_u32 v96, s0, s2, v100
	v_fmac_f32_e32 v82, 0x3e9e377a, v180
	v_fmac_f32_e32 v83, 0x3e9e377a, v185
	;; [unrolled: 1-line block ×3, first 2 shown]
	v_add_f32_e32 v88, v194, v178
	v_add_co_ci_u32_e64 v97, null, s3, 0, s0
	v_fmac_f32_e32 v93, 0x3e9e377a, v102
	v_fmac_f32_e32 v75, 0x3e9e377a, v102
	v_add_nc_u32_e32 v112, 0x400, v156
	ds_write2_b64 v160, v[80:81], v[78:79] offset0:221 offset1:234
	ds_write2_b64 v98, v[82:83], v[84:85] offset0:30 offset1:43
	;; [unrolled: 1-line block ×5, first 2 shown]
	v_add_co_u32 v98, s0, 0x800, v96
	v_add_co_ci_u32_e64 v99, s0, 0, v97, s0
	s_waitcnt lgkmcnt(0)
	s_barrier
	buffer_gl0_inv
	s_clause 0xc
	global_load_dwordx2 v[110:111], v100, s[2:3]
	global_load_dwordx2 v[117:118], v100, s[2:3] offset:200
	global_load_dwordx2 v[153:154], v100, s[2:3] offset:400
	;; [unrolled: 1-line block ×10, first 2 shown]
	global_load_dwordx2 v[193:194], v[98:99], off offset:152
	global_load_dwordx2 v[195:196], v[98:99], off offset:352
	ds_read2_b64 v[102:105], v156 offset1:25
	ds_read2_b64 v[106:109], v156 offset0:50 offset1:75
	ds_read2_b64 v[113:116], v156 offset0:100 offset1:125
	;; [unrolled: 1-line block ×5, first 2 shown]
	ds_read_b64 v[197:198], v156 offset:2400
	s_waitcnt vmcnt(12) lgkmcnt(6)
	v_mul_f32_e32 v100, v103, v111
	v_mul_f32_e32 v119, v102, v111
	s_waitcnt vmcnt(11)
	v_mul_f32_e32 v199, v105, v118
	v_mul_f32_e32 v111, v104, v118
	s_waitcnt vmcnt(10) lgkmcnt(5)
	v_mul_f32_e32 v201, v107, v154
	v_mul_f32_e32 v200, v106, v154
	s_waitcnt vmcnt(9)
	v_mul_f32_e32 v202, v109, v178
	v_mul_f32_e32 v154, v108, v178
	;; [unrolled: 6-line block ×6, first 2 shown]
	s_waitcnt vmcnt(0) lgkmcnt(0)
	v_mul_f32_e32 v211, v198, v196
	v_mul_f32_e32 v194, v197, v196
	v_fma_f32 v118, v102, v110, -v100
	v_fmac_f32_e32 v119, v103, v110
	v_fma_f32 v110, v104, v117, -v199
	v_fmac_f32_e32 v111, v105, v117
	;; [unrolled: 2-line block ×13, first 2 shown]
	ds_write2_b64 v156, v[118:119], v[110:111] offset1:25
	ds_write2_b64 v156, v[199:200], v[153:154] offset0:50 offset1:75
	ds_write2_b64 v156, v[177:178], v[179:180] offset0:100 offset1:125
	;; [unrolled: 1-line block ×5, first 2 shown]
	ds_write_b64 v156, v[193:194] offset:2400
	s_and_saveexec_b32 s0, vcc_lo
	s_cbranch_execz .LBB0_9
; %bb.8:
	s_clause 0x8
	global_load_dwordx2 v[102:103], v[96:97], off offset:104
	global_load_dwordx2 v[110:111], v[96:97], off offset:304
	global_load_dwordx2 v[117:118], v[96:97], off offset:504
	global_load_dwordx2 v[153:154], v[96:97], off offset:704
	global_load_dwordx2 v[173:174], v[96:97], off offset:904
	global_load_dwordx2 v[175:176], v[96:97], off offset:1104
	global_load_dwordx2 v[177:178], v[96:97], off offset:1304
	global_load_dwordx2 v[179:180], v[96:97], off offset:1504
	global_load_dwordx2 v[181:182], v[96:97], off offset:1704
	v_lshl_or_b32 v100, v157, 3, 0x900
	s_clause 0x3
	global_load_dwordx2 v[183:184], v[96:97], off offset:1904
	global_load_dwordx2 v[185:186], v[98:99], off offset:56
	global_load_dwordx2 v[187:188], v100, s[2:3]
	global_load_dwordx2 v[189:190], v[98:99], off offset:456
	ds_read_b64 v[96:97], v160 offset:104
	s_waitcnt vmcnt(12) lgkmcnt(0)
	v_mul_f32_e32 v98, v97, v103
	v_mul_f32_e32 v99, v96, v103
	v_fma_f32 v98, v96, v102, -v98
	v_fmac_f32_e32 v99, v97, v102
	ds_write_b64 v160, v[98:99] offset:104
	ds_read2_b64 v[96:99], v156 offset0:38 offset1:63
	ds_read2_b64 v[102:105], v156 offset0:88 offset1:113
	;; [unrolled: 1-line block ×6, first 2 shown]
	s_waitcnt vmcnt(11) lgkmcnt(5)
	v_mul_f32_e32 v191, v97, v111
	v_mul_f32_e32 v119, v96, v111
	s_waitcnt vmcnt(10)
	v_mul_f32_e32 v192, v99, v118
	v_mul_f32_e32 v111, v98, v118
	s_waitcnt vmcnt(9) lgkmcnt(4)
	v_mul_f32_e32 v193, v103, v154
	v_mul_f32_e32 v100, v102, v154
	s_waitcnt vmcnt(8)
	v_mul_f32_e32 v194, v105, v174
	v_mul_f32_e32 v154, v104, v174
	;; [unrolled: 6-line block ×6, first 2 shown]
	v_fma_f32 v118, v96, v110, -v191
	v_fmac_f32_e32 v119, v97, v110
	v_fma_f32 v110, v98, v117, -v192
	v_fmac_f32_e32 v111, v99, v117
	;; [unrolled: 2-line block ×12, first 2 shown]
	ds_write2_b64 v156, v[118:119], v[110:111] offset0:38 offset1:63
	ds_write2_b64 v156, v[99:100], v[153:154] offset0:88 offset1:113
	;; [unrolled: 1-line block ×6, first 2 shown]
.LBB0_9:
	s_or_b32 exec_lo, exec_lo, s0
	s_waitcnt lgkmcnt(0)
	s_barrier
	buffer_gl0_inv
	ds_read2_b64 v[116:119], v156 offset1:25
	ds_read2_b64 v[108:111], v156 offset0:50 offset1:75
	ds_read2_b64 v[100:103], v156 offset0:100 offset1:125
	;; [unrolled: 1-line block ×5, first 2 shown]
	ds_read_b64 v[153:154], v156 offset:2400
	s_and_saveexec_b32 s0, vcc_lo
	s_cbranch_execz .LBB0_11
; %bb.10:
	v_add_nc_u32_e32 v72, 0x800, v160
	ds_read2_b64 v[80:83], v160 offset0:13 offset1:38
	ds_read2_b64 v[88:91], v160 offset0:63 offset1:88
	;; [unrolled: 1-line block ×6, first 2 shown]
	ds_read_b64 v[151:152], v160 offset:2504
.LBB0_11:
	s_or_b32 exec_lo, exec_lo, s0
	s_waitcnt lgkmcnt(6)
	v_add_f32_e32 v167, v117, v119
	v_add_f32_e32 v166, v116, v118
	s_waitcnt lgkmcnt(0)
	v_sub_f32_e32 v169, v119, v154
	v_add_f32_e32 v170, v154, v119
	v_add_f32_e32 v168, v153, v118
	;; [unrolled: 1-line block ×4, first 2 shown]
	v_sub_f32_e32 v171, v118, v153
	v_sub_f32_e32 v189, v109, v115
	v_mul_f32_e32 v172, 0xbf52af12, v169
	v_add_f32_e32 v119, v167, v111
	v_add_f32_e32 v118, v166, v110
	v_mul_f32_e32 v166, 0xbeedf032, v169
	v_mul_f32_e32 v167, 0x3f62ad3f, v170
	;; [unrolled: 1-line block ×3, first 2 shown]
	v_add_f32_e32 v119, v119, v101
	v_add_f32_e32 v118, v118, v100
	v_mul_f32_e32 v174, 0xbf7e222b, v169
	v_mul_f32_e32 v175, 0x3df6dbef, v170
	;; [unrolled: 1-line block ×3, first 2 shown]
	v_add_f32_e32 v119, v119, v103
	v_add_f32_e32 v118, v118, v102
	v_fmamk_f32 v177, v168, 0x3f62ad3f, v166
	v_mul_f32_e32 v184, 0xbf29c268, v169
	v_mul_f32_e32 v185, 0xbf3f9e67, v170
	v_add_f32_e32 v119, v119, v97
	v_add_f32_e32 v118, v118, v96
	v_mul_f32_e32 v169, 0xbe750f2a, v169
	v_add_f32_e32 v191, v114, v108
	v_mul_f32_e32 v192, 0xbf52af12, v189
	v_add_f32_e32 v119, v119, v99
	v_add_f32_e32 v118, v118, v98
	;; [unrolled: 1-line block ×3, first 2 shown]
	v_fmamk_f32 v178, v171, 0x3eedf032, v167
	v_fma_f32 v166, 0x3f62ad3f, v168, -v166
	v_add_f32_e32 v119, v119, v105
	v_add_f32_e32 v118, v118, v104
	v_fmac_f32_e32 v167, 0xbeedf032, v171
	v_fmamk_f32 v179, v168, 0x3f116cb1, v172
	v_fmamk_f32 v180, v171, 0x3f52af12, v173
	v_add_f32_e32 v119, v119, v107
	v_add_f32_e32 v118, v118, v106
	v_fma_f32 v172, 0x3f116cb1, v168, -v172
	v_fmac_f32_e32 v173, 0xbf52af12, v171
	v_fmamk_f32 v181, v168, 0x3df6dbef, v174
	v_add_f32_e32 v119, v119, v113
	v_add_f32_e32 v118, v118, v112
	v_fmamk_f32 v182, v171, 0x3f7e222b, v175
	v_fma_f32 v174, 0x3df6dbef, v168, -v174
	v_add_f32_e32 v177, v116, v177
	v_add_f32_e32 v119, v119, v115
	;; [unrolled: 1-line block ×3, first 2 shown]
	v_fmac_f32_e32 v175, 0xbf7e222b, v171
	v_fmamk_f32 v186, v168, 0xbf3f9e67, v184
	v_fmamk_f32 v187, v171, 0x3f29c268, v185
	v_add_f32_e32 v119, v119, v154
	v_mul_f32_e32 v154, 0xbeb58ec6, v170
	v_mul_f32_e32 v170, 0xbf788fa5, v170
	v_add_f32_e32 v118, v118, v153
	v_fmamk_f32 v153, v168, 0xbeb58ec6, v176
	v_fma_f32 v176, 0xbeb58ec6, v168, -v176
	v_fmamk_f32 v183, v171, 0x3f6f5d39, v154
	v_fmac_f32_e32 v154, 0xbf6f5d39, v171
	v_fma_f32 v184, 0xbf3f9e67, v168, -v184
	v_fmac_f32_e32 v185, 0xbf29c268, v171
	v_fmamk_f32 v188, v168, 0xbf788fa5, v169
	v_fmamk_f32 v190, v171, 0x3e750f2a, v170
	v_fma_f32 v115, 0xbf788fa5, v168, -v169
	v_fmac_f32_e32 v170, 0xbe750f2a, v171
	v_sub_f32_e32 v108, v108, v114
	v_fmamk_f32 v114, v191, 0x3f116cb1, v192
	v_mul_f32_e32 v168, 0x3f116cb1, v109
	v_add_f32_e32 v178, v117, v178
	v_add_f32_e32 v166, v116, v166
	;; [unrolled: 1-line block ×24, first 2 shown]
	v_fmamk_f32 v117, v108, 0x3f52af12, v168
	v_mul_f32_e32 v170, 0xbf6f5d39, v189
	v_fma_f32 v171, 0x3f116cb1, v191, -v192
	v_fmac_f32_e32 v168, 0xbf52af12, v108
	v_mul_f32_e32 v177, 0xbeb58ec6, v109
	v_add_f32_e32 v117, v117, v178
	v_fmamk_f32 v178, v191, 0xbeb58ec6, v170
	v_add_f32_e32 v166, v171, v166
	v_add_f32_e32 v167, v168, v167
	v_fmamk_f32 v168, v108, 0x3f6f5d39, v177
	v_mul_f32_e32 v171, 0xbe750f2a, v189
	v_add_f32_e32 v178, v178, v179
	v_fma_f32 v170, 0xbeb58ec6, v191, -v170
	v_fmac_f32_e32 v177, 0xbf6f5d39, v108
	v_add_f32_e32 v168, v168, v180
	v_fmamk_f32 v179, v191, 0xbf788fa5, v171
	v_mul_f32_e32 v180, 0xbf788fa5, v109
	v_add_f32_e32 v170, v170, v172
	v_add_f32_e32 v172, v177, v173
	v_mul_f32_e32 v173, 0x3f29c268, v189
	v_add_f32_e32 v177, v179, v181
	v_fmamk_f32 v179, v108, 0x3e750f2a, v180
	v_fma_f32 v171, 0xbf788fa5, v191, -v171
	v_fmac_f32_e32 v180, 0xbe750f2a, v108
	v_mul_f32_e32 v190, 0xbf3f9e67, v109
	v_fmamk_f32 v181, v191, 0xbf3f9e67, v173
	v_add_f32_e32 v179, v179, v182
	v_add_f32_e32 v171, v171, v174
	;; [unrolled: 1-line block ×3, first 2 shown]
	v_fmamk_f32 v175, v108, 0xbf29c268, v190
	v_mul_f32_e32 v180, 0x3f7e222b, v189
	v_add_f32_e32 v153, v181, v153
	v_fma_f32 v173, 0xbf3f9e67, v191, -v173
	v_mul_f32_e32 v181, 0x3df6dbef, v109
	v_add_f32_e32 v175, v175, v183
	v_fmamk_f32 v182, v191, 0x3df6dbef, v180
	v_mul_f32_e32 v183, 0x3eedf032, v189
	v_fma_f32 v180, 0x3df6dbef, v191, -v180
	v_add_f32_e32 v173, v173, v176
	v_fmamk_f32 v176, v108, 0xbf7e222b, v181
	v_add_f32_e32 v182, v182, v186
	v_fmac_f32_e32 v181, 0x3f7e222b, v108
	v_fmamk_f32 v186, v191, 0x3f62ad3f, v183
	v_add_f32_e32 v180, v180, v184
	v_sub_f32_e32 v184, v111, v113
	v_add_f32_e32 v176, v176, v187
	v_mul_f32_e32 v109, 0x3f62ad3f, v109
	v_add_f32_e32 v181, v181, v185
	v_add_f32_e32 v185, v186, v188
	v_add_f32_e32 v187, v112, v110
	v_mul_f32_e32 v188, 0xbf7e222b, v184
	v_add_f32_e32 v111, v113, v111
	v_fmac_f32_e32 v190, 0x3f29c268, v108
	v_fmamk_f32 v186, v108, 0xbeedf032, v109
	v_fma_f32 v113, 0x3f62ad3f, v191, -v183
	v_fmac_f32_e32 v109, 0x3eedf032, v108
	v_sub_f32_e32 v108, v110, v112
	v_fmamk_f32 v110, v187, 0x3df6dbef, v188
	v_mul_f32_e32 v112, 0x3df6dbef, v111
	v_add_f32_e32 v113, v113, v115
	v_add_f32_e32 v109, v109, v116
	v_mul_f32_e32 v115, 0xbe750f2a, v184
	v_add_f32_e32 v110, v110, v114
	v_fmamk_f32 v114, v108, 0x3f7e222b, v112
	v_fma_f32 v116, 0x3df6dbef, v187, -v188
	v_fmac_f32_e32 v112, 0xbf7e222b, v108
	v_mul_f32_e32 v183, 0xbf788fa5, v111
	v_add_f32_e32 v169, v186, v169
	v_add_f32_e32 v114, v114, v117
	v_fmamk_f32 v117, v187, 0xbf788fa5, v115
	v_add_f32_e32 v116, v116, v166
	v_add_f32_e32 v112, v112, v167
	v_fmamk_f32 v166, v108, 0x3e750f2a, v183
	v_mul_f32_e32 v167, 0x3f6f5d39, v184
	v_add_f32_e32 v117, v117, v178
	v_mul_f32_e32 v178, 0xbeb58ec6, v111
	v_mul_f32_e32 v186, 0x3f62ad3f, v111
	v_add_f32_e32 v166, v166, v168
	v_fmamk_f32 v168, v187, 0xbeb58ec6, v167
	v_fma_f32 v167, 0xbeb58ec6, v187, -v167
	v_fma_f32 v115, 0xbf788fa5, v187, -v115
	v_fmac_f32_e32 v183, 0xbe750f2a, v108
	v_add_f32_e32 v154, v190, v154
	v_add_f32_e32 v168, v168, v177
	v_fmamk_f32 v177, v108, 0xbf6f5d39, v178
	v_fmac_f32_e32 v178, 0x3f6f5d39, v108
	v_add_f32_e32 v167, v167, v171
	v_add_f32_e32 v115, v115, v170
	;; [unrolled: 1-line block ×3, first 2 shown]
	v_mul_f32_e32 v172, 0x3eedf032, v184
	v_add_f32_e32 v171, v178, v174
	v_fmamk_f32 v174, v108, 0xbeedf032, v186
	v_mul_f32_e32 v178, 0xbf52af12, v184
	v_add_f32_e32 v177, v177, v179
	v_fmamk_f32 v183, v187, 0x3f62ad3f, v172
	v_fma_f32 v172, 0x3f62ad3f, v187, -v172
	v_add_f32_e32 v174, v174, v175
	v_fmamk_f32 v175, v187, 0x3f116cb1, v178
	v_fma_f32 v178, 0x3f116cb1, v187, -v178
	v_mul_f32_e32 v179, 0x3f116cb1, v111
	v_add_f32_e32 v153, v183, v153
	v_add_f32_e32 v172, v172, v173
	v_mul_f32_e32 v183, 0xbf29c268, v184
	v_add_f32_e32 v178, v178, v180
	v_sub_f32_e32 v180, v101, v107
	v_fmamk_f32 v173, v108, 0x3f52af12, v179
	v_add_f32_e32 v175, v175, v182
	v_fmac_f32_e32 v179, 0xbf52af12, v108
	v_mul_f32_e32 v111, 0xbf3f9e67, v111
	v_add_f32_e32 v182, v106, v100
	v_mul_f32_e32 v184, 0xbf6f5d39, v180
	v_add_f32_e32 v101, v107, v101
	v_fmac_f32_e32 v186, 0x3eedf032, v108
	v_add_f32_e32 v179, v179, v181
	v_fmamk_f32 v181, v108, 0x3f29c268, v111
	v_fma_f32 v107, 0xbf3f9e67, v187, -v183
	v_fmac_f32_e32 v111, 0xbf29c268, v108
	v_sub_f32_e32 v100, v100, v106
	v_fmamk_f32 v106, v182, 0xbeb58ec6, v184
	v_mul_f32_e32 v108, 0xbeb58ec6, v101
	v_add_f32_e32 v169, v181, v169
	v_add_f32_e32 v107, v107, v113
	;; [unrolled: 1-line block ×4, first 2 shown]
	v_fmamk_f32 v110, v100, 0x3f6f5d39, v108
	v_mul_f32_e32 v111, 0x3f29c268, v180
	v_fma_f32 v113, 0xbeb58ec6, v182, -v184
	v_fmac_f32_e32 v108, 0xbf6f5d39, v100
	v_mul_f32_e32 v181, 0xbf3f9e67, v101
	v_add_f32_e32 v110, v110, v114
	v_fmamk_f32 v114, v182, 0xbf3f9e67, v111
	v_add_f32_e32 v113, v113, v116
	v_add_f32_e32 v108, v108, v112
	v_fmamk_f32 v112, v100, 0xbf29c268, v181
	v_mul_f32_e32 v116, 0x3eedf032, v180
	v_add_f32_e32 v114, v114, v117
	v_add_f32_e32 v173, v173, v176
	v_fmamk_f32 v176, v187, 0xbf3f9e67, v183
	v_add_f32_e32 v112, v112, v166
	v_fmamk_f32 v117, v182, 0x3f62ad3f, v116
	v_mul_f32_e32 v166, 0x3f62ad3f, v101
	v_fma_f32 v111, 0xbf3f9e67, v182, -v111
	v_fmac_f32_e32 v181, 0x3f29c268, v100
	v_fma_f32 v116, 0x3f62ad3f, v182, -v116
	v_add_f32_e32 v117, v117, v168
	v_fmamk_f32 v168, v100, 0xbeedf032, v166
	v_fmac_f32_e32 v166, 0x3eedf032, v100
	v_mul_f32_e32 v183, 0x3df6dbef, v101
	v_add_f32_e32 v111, v111, v115
	v_add_f32_e32 v115, v181, v170
	v_mul_f32_e32 v170, 0xbf7e222b, v180
	v_add_f32_e32 v116, v116, v167
	v_add_f32_e32 v166, v166, v171
	v_fmamk_f32 v167, v100, 0x3f7e222b, v183
	v_mul_f32_e32 v171, 0x3e750f2a, v180
	v_fmamk_f32 v181, v182, 0x3df6dbef, v170
	v_add_f32_e32 v168, v168, v177
	v_fma_f32 v170, 0x3df6dbef, v182, -v170
	v_mul_f32_e32 v177, 0xbf788fa5, v101
	v_add_f32_e32 v167, v167, v174
	v_fmamk_f32 v174, v182, 0xbf788fa5, v171
	v_mul_f32_e32 v180, 0x3f52af12, v180
	v_add_f32_e32 v170, v170, v172
	v_fmamk_f32 v172, v100, 0xbe750f2a, v177
	v_fma_f32 v171, 0xbf788fa5, v182, -v171
	v_add_f32_e32 v174, v174, v175
	v_fmac_f32_e32 v177, 0x3e750f2a, v100
	v_sub_f32_e32 v175, v103, v105
	v_add_f32_e32 v176, v176, v185
	v_add_f32_e32 v172, v172, v173
	v_fmamk_f32 v173, v182, 0x3f116cb1, v180
	v_mul_f32_e32 v101, 0x3f116cb1, v101
	v_add_f32_e32 v171, v171, v178
	v_add_f32_e32 v177, v177, v179
	;; [unrolled: 1-line block ×3, first 2 shown]
	v_mul_f32_e32 v179, 0xbf29c268, v175
	v_add_f32_e32 v103, v105, v103
	v_fmac_f32_e32 v183, 0xbf7e222b, v100
	v_add_f32_e32 v173, v173, v176
	v_fmamk_f32 v176, v100, 0xbf52af12, v101
	v_fma_f32 v105, 0x3f116cb1, v182, -v180
	v_fmac_f32_e32 v101, 0x3f52af12, v100
	v_sub_f32_e32 v100, v102, v104
	v_fmamk_f32 v102, v178, 0xbf3f9e67, v179
	v_mul_f32_e32 v104, 0xbf3f9e67, v103
	v_add_f32_e32 v169, v176, v169
	v_add_f32_e32 v105, v105, v107
	;; [unrolled: 1-line block ×4, first 2 shown]
	v_fmamk_f32 v106, v100, 0x3f29c268, v104
	v_mul_f32_e32 v107, 0x3f7e222b, v175
	v_fma_f32 v109, 0xbf3f9e67, v178, -v179
	v_fmac_f32_e32 v104, 0xbf29c268, v100
	v_mul_f32_e32 v176, 0x3df6dbef, v103
	v_add_f32_e32 v106, v106, v110
	v_fmamk_f32 v110, v178, 0x3df6dbef, v107
	v_add_f32_e32 v109, v109, v113
	v_add_f32_e32 v104, v104, v108
	v_fmamk_f32 v108, v100, 0xbf7e222b, v176
	v_mul_f32_e32 v113, 0xbf52af12, v175
	v_fma_f32 v107, 0x3df6dbef, v178, -v107
	v_fmac_f32_e32 v176, 0x3f7e222b, v100
	v_add_f32_e32 v110, v110, v114
	v_add_f32_e32 v108, v108, v112
	v_fmamk_f32 v112, v178, 0x3f116cb1, v113
	v_mul_f32_e32 v114, 0x3f116cb1, v103
	v_add_f32_e32 v107, v107, v111
	v_add_f32_e32 v111, v176, v115
	v_mul_f32_e32 v115, 0x3e750f2a, v175
	v_add_f32_e32 v153, v181, v153
	v_add_f32_e32 v112, v112, v117
	v_fmamk_f32 v117, v100, 0x3f52af12, v114
	v_fma_f32 v113, 0x3f116cb1, v178, -v113
	v_fmac_f32_e32 v114, 0xbf52af12, v100
	v_fmamk_f32 v176, v178, 0xbf788fa5, v115
	v_mul_f32_e32 v179, 0xbf788fa5, v103
	v_add_f32_e32 v117, v117, v168
	v_add_f32_e32 v113, v113, v116
	;; [unrolled: 1-line block ×4, first 2 shown]
	v_fmamk_f32 v153, v100, 0xbe750f2a, v179
	v_mul_f32_e32 v166, 0x3eedf032, v175
	v_fma_f32 v115, 0xbf788fa5, v178, -v115
	v_mul_f32_e32 v168, 0x3f62ad3f, v103
	v_mul_f32_e32 v175, 0xbf6f5d39, v175
	v_add_f32_e32 v153, v153, v167
	v_fmamk_f32 v167, v178, 0x3f62ad3f, v166
	v_add_f32_e32 v115, v115, v170
	v_fmamk_f32 v170, v100, 0xbeedf032, v168
	v_fma_f32 v166, 0x3f62ad3f, v178, -v166
	v_fmac_f32_e32 v168, 0x3eedf032, v100
	v_mul_f32_e32 v103, 0xbeb58ec6, v103
	v_add_f32_e32 v167, v167, v174
	v_add_f32_e32 v170, v170, v172
	v_fmamk_f32 v172, v178, 0xbeb58ec6, v175
	v_add_f32_e32 v166, v166, v171
	v_sub_f32_e32 v171, v97, v99
	v_add_f32_e32 v168, v168, v177
	v_add_f32_e32 v174, v98, v96
	v_add_f32_e32 v172, v172, v173
	v_fmamk_f32 v173, v100, 0x3f6f5d39, v103
	v_mul_f32_e32 v176, 0xbe750f2a, v171
	v_add_f32_e32 v177, v99, v97
	v_fmac_f32_e32 v103, 0xbf6f5d39, v100
	v_fma_f32 v97, 0xbeb58ec6, v178, -v175
	v_sub_f32_e32 v175, v96, v98
	v_fmamk_f32 v96, v174, 0xbf788fa5, v176
	v_mul_f32_e32 v99, 0xbf788fa5, v177
	v_add_f32_e32 v178, v103, v101
	v_mul_f32_e32 v103, 0x3f62ad3f, v177
	v_add_f32_e32 v169, v173, v169
	v_add_f32_e32 v173, v97, v105
	;; [unrolled: 1-line block ×3, first 2 shown]
	v_fmamk_f32 v97, v175, 0x3e750f2a, v99
	v_mul_f32_e32 v101, 0x3eedf032, v171
	v_fma_f32 v98, 0xbf788fa5, v174, -v176
	v_fmac_f32_e32 v99, 0xbe750f2a, v175
	v_fmamk_f32 v102, v175, 0xbeedf032, v103
	v_mul_f32_e32 v105, 0xbf29c268, v171
	v_add_f32_e32 v154, v186, v154
	v_fmac_f32_e32 v179, 0x3e750f2a, v100
	v_add_f32_e32 v97, v97, v106
	v_fmamk_f32 v100, v174, 0x3f62ad3f, v101
	v_add_f32_e32 v98, v98, v109
	v_add_f32_e32 v99, v99, v104
	v_fma_f32 v104, 0x3f62ad3f, v174, -v101
	v_fmac_f32_e32 v103, 0x3eedf032, v175
	v_add_f32_e32 v101, v102, v108
	v_fmamk_f32 v106, v174, 0xbf3f9e67, v105
	v_mul_f32_e32 v108, 0xbf3f9e67, v177
	v_mul_f32_e32 v109, 0x3f52af12, v171
	v_add_f32_e32 v154, v183, v154
	v_add_f32_e32 v100, v100, v110
	;; [unrolled: 1-line block ×5, first 2 shown]
	v_fmamk_f32 v106, v175, 0x3f29c268, v108
	v_fma_f32 v107, 0xbf3f9e67, v174, -v105
	v_fmac_f32_e32 v108, 0xbf29c268, v175
	v_fmamk_f32 v110, v174, 0x3f116cb1, v109
	v_mul_f32_e32 v111, 0x3f116cb1, v177
	v_add_f32_e32 v154, v179, v154
	v_add_f32_e32 v105, v106, v117
	;; [unrolled: 1-line block ×5, first 2 shown]
	v_fmamk_f32 v110, v175, 0xbf52af12, v111
	v_mul_f32_e32 v112, 0xbf6f5d39, v171
	v_fma_f32 v113, 0x3f116cb1, v174, -v109
	v_fmac_f32_e32 v111, 0x3f52af12, v175
	v_mul_f32_e32 v116, 0xbeb58ec6, v177
	v_add_f32_e32 v109, v110, v153
	v_fmamk_f32 v114, v174, 0xbeb58ec6, v112
	v_add_f32_e32 v110, v113, v115
	v_add_f32_e32 v111, v111, v154
	v_fma_f32 v115, 0xbeb58ec6, v174, -v112
	v_mul_f32_e32 v117, 0x3f7e222b, v171
	v_mul_f32_e32 v154, 0x3df6dbef, v177
	v_fmamk_f32 v113, v175, 0x3f6f5d39, v116
	v_add_f32_e32 v112, v114, v167
	v_add_f32_e32 v114, v115, v166
	v_fmac_f32_e32 v116, 0xbf6f5d39, v175
	v_fmamk_f32 v153, v174, 0x3df6dbef, v117
	v_fmamk_f32 v166, v175, 0xbf7e222b, v154
	v_fma_f32 v167, 0x3df6dbef, v174, -v117
	v_fmac_f32_e32 v154, 0x3f7e222b, v175
	v_add_nc_u32_e32 v165, 0x1a0, v156
	v_add_f32_e32 v113, v113, v170
	v_add_f32_e32 v115, v116, v168
	v_add_f32_e32 v116, v153, v172
	v_add_f32_e32 v117, v166, v169
	v_add_f32_e32 v153, v167, v173
	v_add_f32_e32 v154, v154, v178
	s_barrier
	buffer_gl0_inv
	ds_write2_b64 v161, v[118:119], v[96:97] offset1:1
	ds_write2_b64 v161, v[100:101], v[104:105] offset0:2 offset1:3
	ds_write2_b64 v161, v[108:109], v[112:113] offset0:4 offset1:5
	;; [unrolled: 1-line block ×5, first 2 shown]
	ds_write_b64 v161, v[98:99] offset:96
	s_and_saveexec_b32 s0, vcc_lo
	s_cbranch_execz .LBB0_13
; %bb.12:
	v_add_f32_e32 v116, v152, v83
	v_sub_f32_e32 v106, v82, v151
	v_add_f32_e32 v117, v75, v89
	v_sub_f32_e32 v103, v88, v74
	v_add_f32_e32 v118, v73, v91
	v_mul_f32_e32 v119, 0xbf788fa5, v116
	v_sub_f32_e32 v104, v90, v72
	v_mul_f32_e32 v154, 0x3f62ad3f, v117
	v_add_f32_e32 v153, v95, v77
	v_mul_f32_e32 v166, 0xbf3f9e67, v118
	v_fmamk_f32 v96, v106, 0x3e750f2a, v119
	v_sub_f32_e32 v167, v83, v152
	v_fmamk_f32 v97, v103, 0xbeedf032, v154
	v_sub_f32_e32 v102, v76, v94
	v_add_f32_e32 v107, v151, v82
	v_add_f32_e32 v96, v81, v96
	v_mul_f32_e32 v168, 0x3f116cb1, v153
	v_fmamk_f32 v98, v104, 0x3f29c268, v166
	v_mul_f32_e32 v169, 0xbe750f2a, v167
	v_sub_f32_e32 v170, v89, v75
	v_add_f32_e32 v96, v97, v96
	v_add_f32_e32 v108, v74, v88
	v_fmamk_f32 v97, v102, 0xbf52af12, v168
	v_sub_f32_e32 v172, v91, v73
	v_mul_f32_e32 v171, 0x3eedf032, v170
	v_add_f32_e32 v96, v98, v96
	v_fmamk_f32 v98, v107, 0xbf788fa5, v169
	v_add_f32_e32 v161, v93, v79
	v_add_f32_e32 v109, v72, v90
	v_mul_f32_e32 v174, 0xbf29c268, v172
	v_add_f32_e32 v96, v97, v96
	v_add_f32_e32 v97, v80, v98
	v_fmamk_f32 v98, v108, 0x3f62ad3f, v171
	v_sub_f32_e32 v175, v77, v95
	v_sub_f32_e32 v105, v78, v92
	v_mul_f32_e32 v173, 0xbeb58ec6, v161
	v_add_f32_e32 v176, v87, v85
	v_add_f32_e32 v97, v98, v97
	v_fmamk_f32 v98, v109, 0xbf3f9e67, v174
	v_add_f32_e32 v111, v94, v76
	v_mul_f32_e32 v177, 0x3f52af12, v175
	v_sub_f32_e32 v179, v79, v93
	v_fmamk_f32 v99, v105, 0x3f6f5d39, v173
	v_mul_f32_e32 v178, 0x3df6dbef, v176
	v_sub_f32_e32 v110, v84, v86
	v_add_f32_e32 v97, v98, v97
	v_fmamk_f32 v98, v111, 0x3f116cb1, v177
	v_add_f32_e32 v112, v92, v78
	v_mul_f32_e32 v180, 0xbf6f5d39, v179
	v_mul_f32_e32 v181, 0xbf3f9e67, v116
	v_add_f32_e32 v96, v99, v96
	v_fmamk_f32 v99, v110, 0xbf7e222b, v178
	v_add_f32_e32 v98, v98, v97
	v_fmamk_f32 v100, v112, 0xbeb58ec6, v180
	v_fmamk_f32 v101, v106, 0x3f29c268, v181
	v_mul_f32_e32 v182, 0x3df6dbef, v117
	v_add_f32_e32 v97, v99, v96
	v_sub_f32_e32 v183, v85, v87
	v_add_f32_e32 v96, v100, v98
	v_add_f32_e32 v98, v81, v101
	v_fmamk_f32 v99, v103, 0xbf7e222b, v182
	v_mul_f32_e32 v184, 0x3f116cb1, v118
	v_mul_f32_e32 v186, 0xbf29c268, v167
	v_add_f32_e32 v113, v86, v84
	v_mul_f32_e32 v185, 0x3f7e222b, v183
	v_add_f32_e32 v98, v99, v98
	v_fmamk_f32 v99, v104, 0x3f52af12, v184
	v_mul_f32_e32 v187, 0xbf788fa5, v153
	v_fmamk_f32 v101, v107, 0xbf3f9e67, v186
	v_mul_f32_e32 v188, 0x3f7e222b, v170
	v_fmamk_f32 v100, v113, 0x3df6dbef, v185
	v_add_f32_e32 v98, v99, v98
	v_fmamk_f32 v99, v102, 0xbe750f2a, v187
	v_mul_f32_e32 v189, 0x3f62ad3f, v161
	v_add_f32_e32 v101, v80, v101
	v_fmamk_f32 v114, v108, 0x3df6dbef, v188
	v_mul_f32_e32 v190, 0xbf52af12, v172
	v_add_f32_e32 v98, v99, v98
	v_fmamk_f32 v99, v105, 0xbeedf032, v189
	v_add_f32_e32 v96, v100, v96
	v_add_f32_e32 v100, v114, v101
	v_fmamk_f32 v101, v109, 0x3f116cb1, v190
	v_mul_f32_e32 v191, 0x3e750f2a, v175
	v_mul_f32_e32 v192, 0xbeb58ec6, v176
	;; [unrolled: 1-line block ×3, first 2 shown]
	v_add_f32_e32 v98, v99, v98
	v_add_f32_e32 v99, v101, v100
	v_fmamk_f32 v100, v111, 0xbf788fa5, v191
	v_fmamk_f32 v101, v110, 0x3f6f5d39, v192
	;; [unrolled: 1-line block ×3, first 2 shown]
	v_mul_f32_e32 v195, 0xbf3f9e67, v117
	v_mul_f32_e32 v194, 0x3eedf032, v179
	v_add_f32_e32 v100, v100, v99
	v_add_f32_e32 v99, v101, v98
	;; [unrolled: 1-line block ×3, first 2 shown]
	v_fmamk_f32 v101, v103, 0xbf29c268, v195
	v_mul_f32_e32 v196, 0x3f62ad3f, v118
	v_fmamk_f32 v115, v112, 0x3f62ad3f, v194
	v_mul_f32_e32 v198, 0xbf6f5d39, v167
	v_mul_f32_e32 v199, 0x3df6dbef, v153
	v_add_f32_e32 v98, v101, v98
	v_fmamk_f32 v101, v104, 0xbeedf032, v196
	v_add_f32_e32 v100, v115, v100
	v_mul_f32_e32 v197, 0xbf6f5d39, v183
	v_fmamk_f32 v115, v107, 0xbeb58ec6, v198
	v_mul_f32_e32 v200, 0x3f29c268, v170
	v_add_f32_e32 v98, v101, v98
	v_fmamk_f32 v101, v102, 0x3f7e222b, v199
	v_mul_f32_e32 v201, 0xbf788fa5, v161
	v_fmamk_f32 v114, v113, 0xbeb58ec6, v197
	v_add_f32_e32 v115, v80, v115
	v_fmamk_f32 v202, v108, 0xbf3f9e67, v200
	v_mul_f32_e32 v203, 0x3eedf032, v172
	v_add_f32_e32 v101, v101, v98
	v_fmamk_f32 v204, v105, 0xbe750f2a, v201
	v_add_f32_e32 v98, v114, v100
	v_add_f32_e32 v100, v202, v115
	v_fmamk_f32 v114, v109, 0x3f62ad3f, v203
	v_mul_f32_e32 v202, 0xbf7e222b, v175
	v_add_f32_e32 v101, v204, v101
	v_mul_f32_e32 v204, 0x3f116cb1, v176
	v_mul_f32_e32 v205, 0x3df6dbef, v116
	v_add_f32_e32 v100, v114, v100
	v_fmamk_f32 v114, v111, 0x3df6dbef, v202
	v_mul_f32_e32 v206, 0x3e750f2a, v179
	v_fmamk_f32 v115, v110, 0xbf52af12, v204
	v_fmamk_f32 v207, v106, 0x3f7e222b, v205
	v_mul_f32_e32 v208, 0xbf788fa5, v117
	v_add_f32_e32 v100, v114, v100
	v_fmamk_f32 v114, v112, 0xbf788fa5, v206
	v_add_f32_e32 v101, v115, v101
	v_add_f32_e32 v115, v81, v207
	v_fmamk_f32 v207, v103, 0x3e750f2a, v208
	v_mul_f32_e32 v209, 0xbeb58ec6, v118
	v_mul_f32_e32 v211, 0xbf7e222b, v167
	v_add_f32_e32 v100, v114, v100
	v_mul_f32_e32 v210, 0x3f52af12, v183
	v_add_f32_e32 v114, v207, v115
	v_fmamk_f32 v115, v104, 0xbf6f5d39, v209
	v_mul_f32_e32 v207, 0x3f62ad3f, v153
	v_fmamk_f32 v213, v107, 0x3df6dbef, v211
	v_mul_f32_e32 v214, 0xbe750f2a, v170
	v_fmamk_f32 v212, v113, 0x3f116cb1, v210
	v_add_f32_e32 v114, v115, v114
	v_fmamk_f32 v115, v102, 0xbeedf032, v207
	v_mul_f32_e32 v215, 0x3f116cb1, v161
	v_add_f32_e32 v213, v80, v213
	v_fmamk_f32 v216, v108, 0xbf788fa5, v214
	v_mul_f32_e32 v217, 0x3f6f5d39, v172
	v_add_f32_e32 v114, v115, v114
	v_fmamk_f32 v115, v105, 0x3f52af12, v215
	v_add_f32_e32 v100, v212, v100
	v_add_f32_e32 v212, v216, v213
	v_fmamk_f32 v213, v109, 0xbeb58ec6, v217
	v_mul_f32_e32 v216, 0x3eedf032, v175
	v_mul_f32_e32 v218, 0xbf3f9e67, v176
	;; [unrolled: 1-line block ×3, first 2 shown]
	v_add_f32_e32 v114, v115, v114
	v_add_f32_e32 v115, v213, v212
	v_fmamk_f32 v212, v111, 0x3f62ad3f, v216
	v_fmamk_f32 v220, v110, 0x3f29c268, v218
	;; [unrolled: 1-line block ×3, first 2 shown]
	v_mul_f32_e32 v222, 0xbeb58ec6, v117
	v_mul_f32_e32 v213, 0xbf52af12, v179
	v_add_f32_e32 v212, v212, v115
	v_add_f32_e32 v115, v220, v114
	;; [unrolled: 1-line block ×3, first 2 shown]
	v_fmamk_f32 v220, v103, 0x3f6f5d39, v222
	v_mul_f32_e32 v221, 0xbf788fa5, v118
	v_fmamk_f32 v223, v112, 0x3f116cb1, v213
	v_mul_f32_e32 v224, 0xbf52af12, v167
	v_mul_f32_e32 v225, 0xbf3f9e67, v153
	v_add_f32_e32 v114, v220, v114
	v_fmamk_f32 v220, v104, 0x3e750f2a, v221
	v_add_f32_e32 v212, v223, v212
	v_mul_f32_e32 v223, 0xbf29c268, v183
	v_fmamk_f32 v227, v107, 0x3f116cb1, v224
	v_mul_f32_e32 v228, 0xbf6f5d39, v170
	v_add_f32_e32 v114, v220, v114
	v_fmamk_f32 v220, v102, 0xbf29c268, v225
	v_mul_f32_e32 v229, 0x3df6dbef, v161
	v_fmamk_f32 v226, v113, 0xbf3f9e67, v223
	v_add_f32_e32 v227, v80, v227
	v_fmamk_f32 v230, v108, 0xbeb58ec6, v228
	v_add_f32_e32 v220, v220, v114
	v_fmamk_f32 v232, v105, 0xbf7e222b, v229
	v_add_f32_e32 v114, v226, v212
	v_add_f32_e32 v83, v83, v81
	v_add_f32_e32 v212, v230, v227
	v_mul_f32_e32 v230, 0x3f62ad3f, v176
	v_add_f32_e32 v220, v232, v220
	v_mul_f32_e32 v232, 0x3f62ad3f, v116
	v_mul_f32_e32 v235, 0x3f116cb1, v117
	v_add_f32_e32 v83, v89, v83
	v_fmamk_f32 v233, v110, 0xbeedf032, v230
	v_add_f32_e32 v82, v82, v80
	v_fmamk_f32 v234, v106, 0x3eedf032, v232
	v_mul_f32_e32 v118, 0x3df6dbef, v118
	v_add_f32_e32 v83, v91, v83
	v_add_f32_e32 v117, v233, v220
	v_fmamk_f32 v233, v103, 0x3f52af12, v235
	v_add_f32_e32 v220, v81, v234
	v_add_f32_e32 v82, v88, v82
	v_mul_f32_e32 v153, 0xbeb58ec6, v153
	v_add_f32_e32 v77, v77, v83
	v_mul_f32_e32 v167, 0xbeedf032, v167
	v_add_f32_e32 v220, v233, v220
	v_fmamk_f32 v233, v104, 0x3f7e222b, v118
	v_add_f32_e32 v82, v90, v82
	v_add_f32_e32 v77, v79, v77
	v_mul_f32_e32 v90, 0xbf52af12, v170
	v_mul_f32_e32 v91, 0xbf3f9e67, v161
	v_add_f32_e32 v89, v233, v220
	v_fmamk_f32 v220, v102, 0x3f6f5d39, v153
	v_add_f32_e32 v76, v76, v82
	v_add_f32_e32 v77, v85, v77
	v_fmamk_f32 v79, v108, 0x3f116cb1, v90
	v_mul_f32_e32 v161, 0xbf6f5d39, v175
	v_add_f32_e32 v88, v220, v89
	v_fmamk_f32 v89, v107, 0x3f62ad3f, v167
	v_add_f32_e32 v76, v78, v76
	v_add_f32_e32 v77, v87, v77
	v_fmamk_f32 v82, v105, 0x3f29c268, v91
	v_fmac_f32_e32 v119, 0xbe750f2a, v106
	v_add_f32_e32 v83, v80, v89
	v_mul_f32_e32 v89, 0xbf7e222b, v172
	v_add_f32_e32 v76, v84, v76
	v_add_f32_e32 v77, v93, v77
	;; [unrolled: 1-line block ×4, first 2 shown]
	v_fmamk_f32 v79, v109, 0x3df6dbef, v89
	v_add_f32_e32 v76, v86, v76
	v_mul_f32_e32 v86, 0xbf29c268, v179
	v_add_f32_e32 v77, v95, v77
	v_mul_f32_e32 v88, 0xbe750f2a, v183
	v_add_f32_e32 v78, v79, v78
	v_fmamk_f32 v79, v111, 0xbeb58ec6, v161
	v_add_f32_e32 v76, v92, v76
	v_add_f32_e32 v77, v73, v77
	v_fmac_f32_e32 v154, 0x3eedf032, v103
	v_fmac_f32_e32 v181, 0xbf29c268, v106
	v_add_f32_e32 v78, v79, v78
	v_fmamk_f32 v79, v112, 0xbf3f9e67, v86
	v_add_f32_e32 v76, v94, v76
	v_add_f32_e32 v75, v75, v77
	v_fma_f32 v77, 0xbf788fa5, v107, -v169
	v_fmac_f32_e32 v166, 0xbf29c268, v104
	v_add_f32_e32 v78, v79, v78
	v_fmamk_f32 v79, v113, 0xbf788fa5, v88
	v_add_f32_e32 v76, v72, v76
	v_add_f32_e32 v77, v80, v77
	v_fmac_f32_e32 v182, 0x3f7e222b, v103
	v_mul_f32_e32 v87, 0xbf788fa5, v176
	v_add_f32_e32 v72, v79, v78
	v_add_f32_e32 v74, v74, v76
	;; [unrolled: 1-line block ×3, first 2 shown]
	v_fma_f32 v78, 0x3f62ad3f, v108, -v171
	v_add_f32_e32 v79, v81, v181
	v_fmac_f32_e32 v168, 0x3f52af12, v102
	v_fmac_f32_e32 v184, 0xbf52af12, v104
	v_add_f32_e32 v76, v154, v76
	v_add_f32_e32 v77, v78, v77
	v_fma_f32 v78, 0xbf3f9e67, v109, -v174
	v_add_f32_e32 v79, v182, v79
	v_fmamk_f32 v83, v110, 0x3e750f2a, v87
	v_add_f32_e32 v76, v166, v76
	v_fmac_f32_e32 v173, 0xbf6f5d39, v105
	v_add_f32_e32 v77, v78, v77
	v_fma_f32 v78, 0x3f116cb1, v111, -v177
	v_add_f32_e32 v79, v184, v79
	v_add_f32_e32 v76, v168, v76
	v_fmac_f32_e32 v187, 0x3e750f2a, v102
	v_add_f32_e32 v73, v83, v82
	v_add_f32_e32 v77, v78, v77
	v_fma_f32 v78, 0xbeb58ec6, v112, -v180
	v_add_f32_e32 v76, v173, v76
	v_fmac_f32_e32 v178, 0x3f7e222b, v110
	v_fma_f32 v82, 0x3df6dbef, v113, -v185
	v_add_f32_e32 v79, v187, v79
	v_add_f32_e32 v78, v78, v77
	v_fmac_f32_e32 v189, 0x3eedf032, v105
	v_fma_f32 v83, 0xbf3f9e67, v107, -v186
	v_add_f32_e32 v77, v178, v76
	v_fmac_f32_e32 v193, 0xbf6f5d39, v106
	v_add_f32_e32 v76, v82, v78
	v_add_f32_e32 v78, v189, v79
	v_fmac_f32_e32 v192, 0xbf6f5d39, v110
	v_add_f32_e32 v82, v80, v83
	v_fma_f32 v83, 0x3df6dbef, v108, -v188
	v_add_f32_e32 v84, v81, v193
	v_fmac_f32_e32 v195, 0x3f29c268, v103
	v_add_f32_e32 v79, v192, v78
	v_fma_f32 v78, 0xbeb58ec6, v107, -v198
	v_add_f32_e32 v82, v83, v82
	v_fma_f32 v83, 0x3f116cb1, v109, -v190
	v_add_f32_e32 v84, v195, v84
	v_fmac_f32_e32 v196, 0x3eedf032, v104
	v_add_f32_e32 v78, v80, v78
	v_fma_f32 v85, 0xbf3f9e67, v108, -v200
	;; [unrolled: 6-line block ×6, first 2 shown]
	v_add_f32_e32 v82, v80, v82
	v_fmac_f32_e32 v222, 0xbf6f5d39, v103
	v_add_f32_e32 v94, v81, v219
	v_fmac_f32_e32 v221, 0xbe750f2a, v104
	v_fmac_f32_e32 v225, 0x3f29c268, v102
	v_add_f32_e32 v82, v92, v82
	v_fma_f32 v92, 0xbeb58ec6, v109, -v217
	v_add_f32_e32 v94, v222, v94
	v_fma_f32 v93, 0x3f116cb1, v113, -v210
	v_fma_f32 v95, 0xbf3f9e67, v113, -v223
	v_fmac_f32_e32 v229, 0x3f7e222b, v105
	v_add_f32_e32 v82, v92, v82
	v_fma_f32 v92, 0x3f62ad3f, v111, -v216
	v_add_f32_e32 v94, v221, v94
	v_mul_f32_e32 v231, 0xbe750f2a, v172
	v_fmac_f32_e32 v205, 0xbf7e222b, v106
	v_fmac_f32_e32 v232, 0xbeedf032, v106
	v_add_f32_e32 v82, v92, v82
	v_fma_f32 v92, 0x3f116cb1, v112, -v213
	v_add_f32_e32 v94, v225, v94
	v_fmamk_f32 v226, v109, 0xbf788fa5, v231
	v_mul_f32_e32 v227, 0x3f29c268, v175
	v_add_f32_e32 v85, v81, v205
	v_add_f32_e32 v92, v92, v82
	;; [unrolled: 1-line block ×4, first 2 shown]
	v_fma_f32 v94, 0x3f62ad3f, v107, -v167
	v_fmac_f32_e32 v208, 0xbe750f2a, v103
	v_add_f32_e32 v84, v95, v92
	v_fma_f32 v92, 0x3f116cb1, v107, -v224
	v_fma_f32 v95, 0xbeb58ec6, v108, -v228
	v_add_f32_e32 v81, v81, v232
	v_fmac_f32_e32 v235, 0xbf52af12, v103
	v_fma_f32 v90, 0x3f116cb1, v108, -v90
	v_add_f32_e32 v92, v80, v92
	v_add_f32_e32 v80, v80, v94
	;; [unrolled: 1-line block ×3, first 2 shown]
	v_fmamk_f32 v212, v111, 0xbf3f9e67, v227
	v_mul_f32_e32 v226, 0x3f7e222b, v179
	v_add_f32_e32 v85, v208, v85
	v_fmac_f32_e32 v209, 0x3f6f5d39, v104
	v_add_f32_e32 v92, v95, v92
	v_fma_f32 v94, 0xbf788fa5, v109, -v231
	v_add_f32_e32 v81, v235, v81
	v_fmac_f32_e32 v118, 0xbf7e222b, v104
	v_add_f32_e32 v80, v90, v80
	v_fma_f32 v89, 0x3df6dbef, v109, -v89
	v_add_f32_e32 v116, v212, v116
	v_fmamk_f32 v212, v112, 0x3df6dbef, v226
	v_add_f32_e32 v85, v209, v85
	v_fmac_f32_e32 v207, 0x3eedf032, v102
	v_add_f32_e32 v90, v94, v92
	v_fma_f32 v92, 0xbf3f9e67, v111, -v227
	v_add_f32_e32 v81, v118, v81
	v_fmac_f32_e32 v153, 0xbf6f5d39, v102
	v_add_f32_e32 v80, v89, v80
	v_fma_f32 v89, 0xbeb58ec6, v111, -v161
	v_add_f32_e32 v116, v212, v116
	v_mul_f32_e32 v212, 0x3eedf032, v183
	v_add_f32_e32 v85, v207, v85
	v_fmac_f32_e32 v215, 0xbf52af12, v105
	v_add_f32_e32 v90, v92, v90
	v_fma_f32 v92, 0x3df6dbef, v112, -v226
	v_add_f32_e32 v81, v153, v81
	v_fmac_f32_e32 v91, 0xbf29c268, v105
	v_add_f32_e32 v80, v89, v80
	v_fma_f32 v86, 0xbf3f9e67, v112, -v86
	v_fmamk_f32 v234, v113, 0x3f62ad3f, v212
	v_add_f32_e32 v75, v152, v75
	v_add_f32_e32 v74, v151, v74
	;; [unrolled: 1-line block ×3, first 2 shown]
	v_fmac_f32_e32 v218, 0xbf29c268, v110
	v_fmac_f32_e32 v230, 0x3eedf032, v110
	v_add_f32_e32 v89, v92, v90
	v_fma_f32 v90, 0x3f62ad3f, v113, -v212
	v_add_f32_e32 v91, v91, v81
	v_fmac_f32_e32 v87, 0xbe750f2a, v110
	v_add_f32_e32 v86, v86, v80
	v_fma_f32 v88, 0xbf788fa5, v113, -v88
	v_lshl_add_u32 v92, v159, 3, v158
	v_add_f32_e32 v116, v234, v116
	v_add_f32_e32 v85, v218, v85
	;; [unrolled: 1-line block ×6, first 2 shown]
	ds_write2_b64 v92, v[74:75], v[72:73] offset1:1
	ds_write2_b64 v92, v[116:117], v[114:115] offset0:2 offset1:3
	ds_write2_b64 v92, v[100:101], v[98:99] offset0:4 offset1:5
	;; [unrolled: 1-line block ×5, first 2 shown]
	ds_write_b64 v92, v[86:87] offset:96
.LBB0_13:
	s_or_b32 exec_lo, exec_lo, s0
	s_waitcnt lgkmcnt(0)
	s_barrier
	buffer_gl0_inv
	ds_read2_b64 v[72:75], v156 offset0:52 offset1:65
	ds_read2_b64 v[85:88], v156 offset0:130 offset1:143
	;; [unrolled: 1-line block ×3, first 2 shown]
	v_add_nc_u32_e32 v84, 0x800, v156
	ds_read2_b64 v[80:83], v156 offset1:13
	ds_read2_b64 v[93:96], v156 offset0:78 offset1:91
	ds_read2_b64 v[97:100], v84 offset0:4 offset1:17
	;; [unrolled: 1-line block ×7, first 2 shown]
	ds_read_b64 v[117:118], v156 offset:2496
	ds_read2_b64 v[151:154], v84 offset0:30 offset1:43
	s_waitcnt lgkmcnt(0)
	s_barrier
	buffer_gl0_inv
	s_mov_b32 s2, 0x7f9b2ce6
	s_mov_b32 s3, 0x3f6934c6
	s_mul_hi_u32 s1, s8, 25
	s_mul_i32 s4, s8, 25
	v_mul_f32_e32 v119, v5, v75
	v_mul_f32_e32 v158, v5, v74
	;; [unrolled: 1-line block ×6, first 2 shown]
	v_fmac_f32_e32 v119, v4, v74
	v_fma_f32 v74, v4, v75, -v158
	v_fmac_f32_e32 v159, v6, v85
	v_fma_f32 v85, v0, v92, -v167
	v_mul_f32_e32 v92, v5, v94
	v_mul_f32_e32 v5, v5, v93
	;; [unrolled: 1-line block ×3, first 2 shown]
	v_fma_f32 v75, v6, v86, -v161
	v_mul_f32_e32 v86, v3, v98
	v_fmac_f32_e32 v92, v4, v93
	v_fma_f32 v93, v4, v94, -v5
	v_fmac_f32_e32 v158, v6, v87
	v_mul_f32_e32 v4, v7, v87
	v_mul_f32_e32 v87, v1, v102
	;; [unrolled: 1-line block ×4, first 2 shown]
	v_fmac_f32_e32 v166, v0, v91
	v_mul_f32_e32 v91, v3, v97
	v_fmac_f32_e32 v86, v2, v97
	v_mul_f32_e32 v3, v3, v99
	v_fmac_f32_e32 v87, v0, v101
	v_fma_f32 v97, v0, v102, -v1
	v_fmac_f32_e32 v94, v2, v99
	v_mul_f32_e32 v99, v29, v96
	v_mul_f32_e32 v0, v29, v95
	;; [unrolled: 1-line block ×3, first 2 shown]
	v_fma_f32 v91, v2, v98, -v91
	v_fma_f32 v98, v2, v100, -v3
	v_mul_f32_e32 v100, v31, v106
	v_mul_f32_e32 v31, v25, v104
	v_fmac_f32_e32 v99, v28, v95
	v_fma_f32 v95, v28, v96, -v0
	v_fma_f32 v96, v30, v106, -v1
	v_mul_f32_e32 v0, v25, v103
	v_mul_f32_e32 v1, v27, v151
	v_fmac_f32_e32 v100, v30, v105
	v_fmac_f32_e32 v31, v24, v103
	v_mul_f32_e32 v2, v21, v109
	v_fma_f32 v102, v24, v104, -v0
	v_fma_f32 v103, v26, v152, -v1
	v_mul_f32_e32 v105, v23, v108
	v_mul_f32_e32 v0, v23, v107
	;; [unrolled: 1-line block ×3, first 2 shown]
	v_fma_f32 v104, v20, v110, -v2
	v_mul_f32_e32 v106, v17, v114
	v_fmac_f32_e32 v105, v22, v107
	v_fma_f32 v107, v22, v108, -v0
	v_fma_f32 v108, v16, v114, -v1
	v_mul_f32_e32 v0, v19, v153
	v_mul_f32_e32 v17, v13, v112
	;; [unrolled: 1-line block ×5, first 2 shown]
	v_fmac_f32_e32 v106, v16, v113
	v_mul_f32_e32 v16, v15, v90
	v_fma_f32 v110, v18, v154, -v0
	v_fmac_f32_e32 v17, v12, v111
	v_fma_f32 v12, v12, v112, -v1
	v_fma_f32 v13, v14, v90, -v2
	v_add_f32_e32 v0, v159, v166
	v_mul_f32_e32 v1, v9, v115
	v_add_f32_e32 v2, v80, v119
	v_fma_f32 v88, v6, v88, -v4
	v_fmac_f32_e32 v16, v14, v89
	v_mul_f32_e32 v15, v9, v116
	v_fma_f32 v0, -0.5, v0, v80
	v_sub_f32_e32 v3, v74, v91
	v_fma_f32 v14, v8, v116, -v1
	v_add_f32_e32 v1, v2, v159
	v_sub_f32_e32 v4, v119, v159
	v_sub_f32_e32 v6, v86, v166
	v_add_f32_e32 v7, v119, v86
	v_fmac_f32_e32 v101, v20, v109
	v_mul_f32_e32 v109, v19, v154
	v_mul_f32_e32 v111, v11, v118
	v_fmac_f32_e32 v15, v8, v115
	v_fmamk_f32 v2, v3, 0xbf737871, v0
	v_sub_f32_e32 v5, v75, v85
	v_mul_f32_e32 v8, v11, v117
	v_add_f32_e32 v1, v1, v166
	v_add_f32_e32 v9, v4, v6
	v_fma_f32 v4, -0.5, v7, v80
	v_fmac_f32_e32 v0, 0x3f737871, v3
	v_add_f32_e32 v11, v81, v74
	v_fmac_f32_e32 v109, v18, v153
	v_fmac_f32_e32 v111, v10, v117
	v_fmac_f32_e32 v2, 0xbf167918, v5
	v_fma_f32 v10, v10, v118, -v8
	v_add_f32_e32 v8, v1, v86
	v_fmamk_f32 v6, v5, 0x3f737871, v4
	v_sub_f32_e32 v1, v159, v119
	v_sub_f32_e32 v7, v166, v86
	v_fmac_f32_e32 v0, 0x3f167918, v5
	v_add_f32_e32 v18, v75, v85
	v_fmac_f32_e32 v4, 0xbf737871, v5
	v_add_f32_e32 v5, v11, v75
	;; [unrolled: 2-line block ×3, first 2 shown]
	v_fma_f32 v1, -0.5, v18, v81
	v_sub_f32_e32 v11, v119, v86
	v_fmac_f32_e32 v0, 0x3e9e377a, v9
	v_add_f32_e32 v9, v5, v85
	v_add_f32_e32 v5, v74, v91
	v_mul_f32_e32 v29, v27, v152
	v_fmac_f32_e32 v6, 0xbf167918, v3
	v_fmac_f32_e32 v4, 0x3f167918, v3
	v_fmamk_f32 v3, v11, 0x3f737871, v1
	v_sub_f32_e32 v19, v159, v166
	v_sub_f32_e32 v18, v74, v75
	;; [unrolled: 1-line block ×3, first 2 shown]
	v_fma_f32 v5, -0.5, v5, v81
	v_fmac_f32_e32 v1, 0xbf737871, v11
	v_add_f32_e32 v23, v82, v92
	v_fmac_f32_e32 v29, v26, v151
	v_fmac_f32_e32 v6, 0x3e9e377a, v7
	v_fmac_f32_e32 v4, 0x3e9e377a, v7
	v_fmac_f32_e32 v3, 0x3f167918, v19
	v_add_f32_e32 v20, v18, v20
	v_fmamk_f32 v7, v19, 0xbf737871, v5
	v_sub_f32_e32 v18, v75, v74
	v_sub_f32_e32 v21, v85, v91
	v_add_f32_e32 v22, v158, v87
	v_fmac_f32_e32 v1, 0xbf167918, v19
	v_fmac_f32_e32 v5, 0x3f737871, v19
	v_add_f32_e32 v19, v23, v158
	v_add_f32_e32 v26, v92, v94
	v_fmac_f32_e32 v7, 0x3f167918, v11
	v_add_f32_e32 v21, v18, v21
	v_fma_f32 v18, -0.5, v22, v82
	v_sub_f32_e32 v25, v93, v98
	v_sub_f32_e32 v23, v88, v97
	;; [unrolled: 1-line block ×4, first 2 shown]
	v_fmac_f32_e32 v5, 0xbf167918, v11
	v_add_f32_e32 v11, v19, v87
	v_fma_f32 v82, -0.5, v26, v82
	v_fmac_f32_e32 v3, 0x3e9e377a, v20
	v_fmac_f32_e32 v1, 0x3e9e377a, v20
	;; [unrolled: 1-line block ×3, first 2 shown]
	v_fmamk_f32 v20, v25, 0xbf737871, v18
	v_add_f32_e32 v27, v22, v24
	v_fmac_f32_e32 v5, 0x3e9e377a, v21
	v_add_f32_e32 v22, v11, v94
	v_fmac_f32_e32 v18, 0x3f737871, v25
	v_fmamk_f32 v24, v23, 0x3f737871, v82
	v_sub_f32_e32 v11, v158, v92
	v_sub_f32_e32 v19, v87, v94
	v_add_f32_e32 v21, v83, v93
	v_add_f32_e32 v26, v88, v97
	v_fmac_f32_e32 v82, 0xbf737871, v23
	v_fmac_f32_e32 v20, 0xbf167918, v23
	;; [unrolled: 1-line block ×4, first 2 shown]
	v_add_f32_e32 v11, v11, v19
	v_add_f32_e32 v21, v21, v88
	v_fma_f32 v19, -0.5, v26, v83
	v_sub_f32_e32 v30, v92, v94
	v_fmac_f32_e32 v82, 0x3f167918, v25
	v_sub_f32_e32 v26, v93, v88
	v_sub_f32_e32 v28, v98, v97
	v_fmac_f32_e32 v20, 0x3e9e377a, v27
	v_fmac_f32_e32 v18, 0x3e9e377a, v27
	;; [unrolled: 1-line block ×3, first 2 shown]
	v_add_f32_e32 v23, v21, v97
	v_fmamk_f32 v21, v30, 0x3f737871, v19
	v_add_f32_e32 v25, v93, v98
	v_sub_f32_e32 v27, v158, v87
	v_fmac_f32_e32 v82, 0x3e9e377a, v11
	v_add_f32_e32 v11, v26, v28
	v_fmac_f32_e32 v19, 0xbf737871, v30
	v_sub_f32_e32 v26, v88, v93
	v_sub_f32_e32 v28, v97, v98
	v_fmac_f32_e32 v83, -0.5, v25
	v_fmac_f32_e32 v21, 0x3f167918, v27
	v_fmac_f32_e32 v19, 0xbf167918, v27
	v_add_f32_e32 v74, v100, v31
	v_add_f32_e32 v75, v26, v28
	;; [unrolled: 1-line block ×3, first 2 shown]
	v_fmamk_f32 v25, v27, 0xbf737871, v83
	v_fmac_f32_e32 v21, 0x3e9e377a, v11
	v_fmac_f32_e32 v19, 0x3e9e377a, v11
	;; [unrolled: 1-line block ×3, first 2 shown]
	v_add_f32_e32 v11, v28, v100
	v_add_f32_e32 v85, v99, v29
	v_fmac_f32_e32 v25, 0x3f167918, v30
	v_fma_f32 v26, -0.5, v74, v76
	v_sub_f32_e32 v80, v95, v103
	v_sub_f32_e32 v27, v96, v102
	;; [unrolled: 1-line block ×4, first 2 shown]
	v_fmac_f32_e32 v83, 0xbf167918, v30
	v_add_f32_e32 v11, v11, v31
	v_fma_f32 v30, -0.5, v85, v76
	v_fmac_f32_e32 v25, 0x3e9e377a, v75
	v_fmamk_f32 v28, v80, 0xbf737871, v26
	v_add_f32_e32 v81, v74, v81
	v_fmac_f32_e32 v83, 0x3e9e377a, v75
	v_add_f32_e32 v74, v11, v29
	v_fmac_f32_e32 v26, 0x3f737871, v80
	v_fmamk_f32 v76, v27, 0x3f737871, v30
	v_sub_f32_e32 v11, v100, v99
	v_sub_f32_e32 v75, v31, v29
	v_add_f32_e32 v85, v77, v95
	v_add_f32_e32 v86, v96, v102
	v_fmac_f32_e32 v30, 0xbf737871, v27
	v_fmac_f32_e32 v28, 0xbf167918, v27
	;; [unrolled: 1-line block ×4, first 2 shown]
	v_add_f32_e32 v11, v11, v75
	v_add_f32_e32 v75, v85, v96
	v_fma_f32 v27, -0.5, v86, v77
	v_sub_f32_e32 v86, v99, v29
	v_fmac_f32_e32 v30, 0x3f167918, v80
	v_add_f32_e32 v80, v95, v103
	v_sub_f32_e32 v85, v95, v96
	v_sub_f32_e32 v87, v103, v102
	v_fmac_f32_e32 v28, 0x3e9e377a, v81
	v_fmac_f32_e32 v26, 0x3e9e377a, v81
	;; [unrolled: 1-line block ×3, first 2 shown]
	v_fmamk_f32 v29, v86, 0x3f737871, v27
	v_sub_f32_e32 v81, v100, v31
	v_fmac_f32_e32 v30, 0x3e9e377a, v11
	v_fma_f32 v31, -0.5, v80, v77
	v_add_f32_e32 v11, v85, v87
	v_fmac_f32_e32 v27, 0xbf737871, v86
	v_sub_f32_e32 v80, v96, v95
	v_sub_f32_e32 v85, v102, v103
	v_fmac_f32_e32 v29, 0x3f167918, v81
	v_add_f32_e32 v9, v9, v91
	v_fmac_f32_e32 v27, 0xbf167918, v81
	v_fmamk_f32 v77, v81, 0xbf737871, v31
	v_add_f32_e32 v88, v80, v85
	v_add_f32_e32 v85, v78, v101
	v_fmac_f32_e32 v29, 0x3e9e377a, v11
	v_add_f32_e32 v87, v105, v106
	v_fmac_f32_e32 v27, 0x3e9e377a, v11
	v_fmac_f32_e32 v31, 0x3f737871, v81
	v_add_f32_e32 v11, v85, v105
	v_add_f32_e32 v91, v101, v109
	v_fmac_f32_e32 v77, 0x3f167918, v86
	v_fma_f32 v80, -0.5, v87, v78
	v_sub_f32_e32 v90, v104, v110
	v_sub_f32_e32 v81, v107, v108
	;; [unrolled: 1-line block ×4, first 2 shown]
	v_fmac_f32_e32 v31, 0xbf167918, v86
	v_add_f32_e32 v11, v11, v106
	v_fma_f32 v78, -0.5, v91, v78
	v_fmac_f32_e32 v77, 0x3e9e377a, v88
	v_fmamk_f32 v85, v90, 0xbf737871, v80
	v_add_f32_e32 v86, v87, v89
	v_fmac_f32_e32 v31, 0x3e9e377a, v88
	v_add_f32_e32 v87, v11, v109
	v_fmac_f32_e32 v80, 0x3f737871, v90
	v_fmamk_f32 v89, v81, 0x3f737871, v78
	v_sub_f32_e32 v11, v105, v101
	v_sub_f32_e32 v88, v106, v109
	v_add_f32_e32 v92, v107, v108
	v_fmac_f32_e32 v78, 0xbf737871, v81
	v_fmac_f32_e32 v85, 0xbf167918, v81
	;; [unrolled: 1-line block ×3, first 2 shown]
	v_add_f32_e32 v91, v79, v104
	v_fmac_f32_e32 v89, 0xbf167918, v90
	v_add_f32_e32 v11, v11, v88
	v_fma_f32 v81, -0.5, v92, v79
	v_sub_f32_e32 v92, v101, v109
	v_fmac_f32_e32 v78, 0x3f167918, v90
	v_add_f32_e32 v90, v104, v110
	v_sub_f32_e32 v93, v104, v107
	v_sub_f32_e32 v94, v110, v108
	v_fmac_f32_e32 v85, 0x3e9e377a, v86
	v_add_f32_e32 v88, v91, v107
	v_fmac_f32_e32 v80, 0x3e9e377a, v86
	v_fmac_f32_e32 v89, 0x3e9e377a, v11
	v_fmamk_f32 v86, v92, 0x3f737871, v81
	v_sub_f32_e32 v91, v105, v106
	v_fmac_f32_e32 v78, 0x3e9e377a, v11
	v_fmac_f32_e32 v79, -0.5, v90
	v_add_f32_e32 v11, v93, v94
	v_fmac_f32_e32 v81, 0xbf737871, v92
	v_sub_f32_e32 v93, v107, v104
	v_sub_f32_e32 v94, v108, v110
	v_add_f32_e32 v95, v16, v15
	v_fmac_f32_e32 v86, 0x3f167918, v91
	v_fmamk_f32 v90, v91, 0xbf737871, v79
	v_fmac_f32_e32 v81, 0xbf167918, v91
	v_add_f32_e32 v94, v93, v94
	v_fmac_f32_e32 v79, 0x3f737871, v91
	v_add_f32_e32 v93, v72, v17
	v_fma_f32 v91, -0.5, v95, v72
	v_sub_f32_e32 v96, v12, v10
	v_add_f32_e32 v23, v23, v98
	v_fmac_f32_e32 v86, 0x3e9e377a, v11
	v_fmac_f32_e32 v90, 0x3f167918, v92
	;; [unrolled: 1-line block ×4, first 2 shown]
	v_add_f32_e32 v11, v93, v16
	v_fmamk_f32 v93, v96, 0xbf737871, v91
	v_sub_f32_e32 v92, v13, v14
	v_sub_f32_e32 v95, v17, v16
	;; [unrolled: 1-line block ×3, first 2 shown]
	v_fmac_f32_e32 v91, 0x3f737871, v96
	v_add_f32_e32 v98, v17, v111
	v_fmac_f32_e32 v93, 0xbf167918, v92
	v_fmac_f32_e32 v90, 0x3e9e377a, v94
	v_add_f32_e32 v95, v95, v97
	v_fmac_f32_e32 v91, 0x3f167918, v92
	v_fma_f32 v72, -0.5, v98, v72
	v_sub_f32_e32 v97, v16, v17
	v_sub_f32_e32 v98, v15, v111
	v_fmac_f32_e32 v79, 0x3e9e377a, v94
	v_fmac_f32_e32 v93, 0x3e9e377a, v95
	;; [unrolled: 1-line block ×3, first 2 shown]
	v_fmamk_f32 v95, v92, 0x3f737871, v72
	v_add_f32_e32 v94, v13, v14
	v_fmac_f32_e32 v72, 0xbf737871, v92
	v_add_f32_e32 v99, v73, v12
	v_add_f32_e32 v97, v97, v98
	;; [unrolled: 1-line block ×4, first 2 shown]
	v_fma_f32 v92, -0.5, v94, v73
	v_sub_f32_e32 v17, v17, v111
	v_fmac_f32_e32 v95, 0xbf167918, v96
	v_fmac_f32_e32 v72, 0x3f167918, v96
	v_add_f32_e32 v96, v99, v13
	v_sub_f32_e32 v15, v16, v15
	v_fmac_f32_e32 v73, -0.5, v98
	v_fmamk_f32 v94, v17, 0x3f737871, v92
	v_fmac_f32_e32 v95, 0x3e9e377a, v97
	v_fmac_f32_e32 v72, 0x3e9e377a, v97
	v_add_f32_e32 v16, v96, v14
	v_sub_f32_e32 v97, v12, v13
	v_sub_f32_e32 v98, v10, v14
	v_fmamk_f32 v96, v15, 0xbf737871, v73
	v_sub_f32_e32 v12, v13, v12
	v_sub_f32_e32 v13, v14, v10
	v_fmac_f32_e32 v73, 0x3f737871, v15
	v_fmac_f32_e32 v92, 0xbf737871, v17
	v_add_f32_e32 v88, v88, v108
	v_add_f32_e32 v75, v75, v102
	v_fmac_f32_e32 v94, 0x3f167918, v15
	v_add_f32_e32 v14, v97, v98
	v_add_f32_e32 v13, v12, v13
	v_fmac_f32_e32 v73, 0xbf167918, v17
	v_fmac_f32_e32 v92, 0xbf167918, v15
	v_fmac_f32_e32 v96, 0x3f167918, v17
	v_add_f32_e32 v88, v88, v110
	v_add_f32_e32 v75, v75, v103
	;; [unrolled: 1-line block ×4, first 2 shown]
	v_fmac_f32_e32 v94, 0x3e9e377a, v14
	v_fmac_f32_e32 v73, 0x3e9e377a, v13
	ds_write2_b64 v156, v[8:9], v[2:3] offset1:13
	ds_write2_b64 v156, v[6:7], v[4:5] offset0:26 offset1:39
	ds_write2_b64 v156, v[0:1], v[22:23] offset0:52 offset1:65
	;; [unrolled: 1-line block ×6, first 2 shown]
	v_add_nc_u32_e32 v0, 0x800, v162
	v_fmac_f32_e32 v92, 0x3e9e377a, v14
	v_fmac_f32_e32 v96, 0x3e9e377a, v13
	ds_write_b64 v163, v[26:27] offset:1456
	ds_write2_b64 v164, v[87:88], v[85:86] offset0:195 offset1:208
	ds_write2_b64 v164, v[89:90], v[78:79] offset0:221 offset1:234
	ds_write_b64 v164, v[80:81] offset:1976
	ds_write2_b64 v0, v[11:12], v[93:94] offset0:4 offset1:17
	ds_write2_b64 v0, v[95:96], v[72:73] offset0:30 offset1:43
	ds_write_b64 v162, v[91:92] offset:2496
	s_waitcnt lgkmcnt(0)
	s_barrier
	buffer_gl0_inv
	ds_read2_b64 v[0:3], v156 offset0:52 offset1:65
	ds_read2_b64 v[12:15], v156 offset0:130 offset1:143
	;; [unrolled: 1-line block ×3, first 2 shown]
	ds_read2_b64 v[8:11], v156 offset1:13
	ds_read2_b64 v[20:23], v84 offset0:4 offset1:17
	ds_read2_b64 v[24:27], v156 offset0:78 offset1:91
	;; [unrolled: 1-line block ×8, first 2 shown]
	ds_read_b64 v[89:90], v156 offset:2496
	s_waitcnt lgkmcnt(12)
	v_mul_f32_e32 v91, v57, v3
	s_waitcnt lgkmcnt(10)
	v_mul_f32_e32 v92, v65, v19
	v_mul_f32_e32 v65, v65, v18
	v_fmac_f32_e32 v91, v56, v2
	v_mul_f32_e32 v2, v57, v2
	v_mul_f32_e32 v57, v59, v13
	;; [unrolled: 1-line block ×3, first 2 shown]
	v_fmac_f32_e32 v92, v64, v18
	v_fma_f32 v56, v56, v3, -v2
	v_fmac_f32_e32 v57, v58, v12
	v_fma_f32 v58, v58, v13, -v59
	v_fma_f32 v59, v64, v19, -v65
	s_waitcnt lgkmcnt(8)
	v_mul_f32_e32 v2, v67, v20
	s_waitcnt lgkmcnt(7)
	v_mul_f32_e32 v64, v41, v25
	v_mul_f32_e32 v3, v41, v24
	;; [unrolled: 1-line block ×4, first 2 shown]
	v_fma_f32 v65, v66, v21, -v2
	v_fmac_f32_e32 v64, v40, v24
	v_fma_f32 v40, v40, v25, -v3
	v_mul_f32_e32 v2, v43, v14
	s_waitcnt lgkmcnt(6)
	v_mul_f32_e32 v3, v69, v28
	v_fmac_f32_e32 v41, v42, v14
	v_mul_f32_e32 v43, v69, v29
	v_mul_f32_e32 v69, v53, v27
	v_fma_f32 v42, v42, v15, -v2
	v_fma_f32 v67, v68, v29, -v3
	v_mul_f32_e32 v2, v53, v26
	s_waitcnt lgkmcnt(4)
	v_mul_f32_e32 v53, v55, v73
	v_mul_f32_e32 v3, v55, v72
	;; [unrolled: 1-line block ×4, first 2 shown]
	v_fmac_f32_e32 v69, v52, v26
	v_fma_f32 v52, v52, v27, -v2
	v_fmac_f32_e32 v53, v54, v72
	v_fma_f32 v54, v54, v73, -v3
	v_mul_f32_e32 v2, v61, v30
	s_waitcnt lgkmcnt(3)
	v_mul_f32_e32 v61, v63, v77
	v_mul_f32_e32 v3, v63, v76
	v_fmac_f32_e32 v13, v66, v20
	v_mul_f32_e32 v66, v71, v23
	v_fmac_f32_e32 v43, v68, v28
	v_fma_f32 v68, v70, v23, -v12
	v_fmac_f32_e32 v55, v60, v30
	s_waitcnt lgkmcnt(2)
	v_mul_f32_e32 v12, v37, v80
	v_fma_f32 v60, v60, v31, -v2
	v_fmac_f32_e32 v61, v62, v76
	v_fma_f32 v62, v62, v77, -v3
	v_mul_f32_e32 v71, v39, v75
	v_mul_f32_e32 v2, v39, v74
	s_waitcnt lgkmcnt(1)
	v_mul_f32_e32 v3, v49, v85
	v_fmac_f32_e32 v66, v70, v22
	v_fma_f32 v70, v36, v81, -v12
	v_mul_f32_e32 v72, v49, v86
	v_mul_f32_e32 v49, v51, v79
	v_fmac_f32_e32 v71, v38, v74
	v_fma_f32 v73, v38, v75, -v2
	v_fma_f32 v74, v48, v86, -v3
	v_mul_f32_e32 v2, v51, v78
	v_mul_f32_e32 v3, v45, v82
	;; [unrolled: 1-line block ×3, first 2 shown]
	v_fmac_f32_e32 v49, v50, v78
	v_mul_f32_e32 v20, v47, v17
	v_fma_f32 v50, v50, v79, -v2
	v_fma_f32 v18, v44, v83, -v3
	v_fma_f32 v19, v46, v17, -v12
	v_add_f32_e32 v2, v57, v92
	v_mul_f32_e32 v3, v33, v87
	v_add_f32_e32 v12, v8, v91
	v_sub_f32_e32 v15, v56, v65
	v_add_f32_e32 v24, v91, v13
	v_fma_f32 v2, -0.5, v2, v8
	v_fma_f32 v22, v32, v88, -v3
	v_add_f32_e32 v3, v12, v57
	v_fmac_f32_e32 v20, v46, v16
	v_sub_f32_e32 v17, v58, v59
	v_fmamk_f32 v12, v15, 0xbf737871, v2
	v_sub_f32_e32 v14, v91, v57
	v_sub_f32_e32 v16, v13, v92
	s_waitcnt lgkmcnt(0)
	v_mul_f32_e32 v25, v35, v89
	v_add_f32_e32 v3, v3, v92
	v_fma_f32 v8, -0.5, v24, v8
	v_fmac_f32_e32 v2, 0x3f737871, v15
	v_add_f32_e32 v27, v9, v56
	v_fmac_f32_e32 v12, 0xbf167918, v17
	v_add_f32_e32 v26, v14, v16
	v_fma_f32 v24, v34, v90, -v25
	v_add_f32_e32 v14, v3, v13
	v_fmamk_f32 v16, v17, 0x3f737871, v8
	v_sub_f32_e32 v3, v57, v91
	v_sub_f32_e32 v25, v92, v13
	v_fmac_f32_e32 v2, 0x3f167918, v17
	v_add_f32_e32 v28, v58, v59
	v_fmac_f32_e32 v8, 0xbf737871, v17
	v_add_f32_e32 v17, v27, v58
	;; [unrolled: 2-line block ×3, first 2 shown]
	v_fma_f32 v3, -0.5, v28, v9
	v_sub_f32_e32 v28, v91, v13
	v_fmac_f32_e32 v8, 0x3f167918, v15
	v_add_f32_e32 v15, v17, v59
	v_add_f32_e32 v17, v56, v65
	v_fmac_f32_e32 v12, 0x3e9e377a, v26
	v_fmac_f32_e32 v2, 0x3e9e377a, v26
	v_fmamk_f32 v13, v28, 0x3f737871, v3
	v_sub_f32_e32 v26, v57, v92
	v_sub_f32_e32 v27, v56, v58
	v_sub_f32_e32 v29, v65, v59
	v_fma_f32 v9, -0.5, v17, v9
	v_fmac_f32_e32 v3, 0xbf737871, v28
	v_add_f32_e32 v31, v10, v64
	v_mul_f32_e32 v75, v35, v90
	v_fmac_f32_e32 v16, 0x3e9e377a, v25
	v_fmac_f32_e32 v8, 0x3e9e377a, v25
	;; [unrolled: 1-line block ×3, first 2 shown]
	v_add_f32_e32 v27, v27, v29
	v_fmamk_f32 v17, v26, 0xbf737871, v9
	v_sub_f32_e32 v25, v58, v56
	v_sub_f32_e32 v29, v59, v65
	v_add_f32_e32 v30, v41, v43
	v_fmac_f32_e32 v3, 0xbf167918, v26
	v_fmac_f32_e32 v9, 0x3f737871, v26
	v_add_f32_e32 v26, v31, v41
	v_mul_f32_e32 v23, v33, v88
	v_fmac_f32_e32 v75, v34, v89
	v_fmac_f32_e32 v17, 0x3f167918, v28
	v_add_f32_e32 v29, v25, v29
	v_fma_f32 v25, -0.5, v30, v10
	v_sub_f32_e32 v30, v40, v68
	v_sub_f32_e32 v31, v64, v41
	;; [unrolled: 1-line block ×3, first 2 shown]
	v_add_f32_e32 v34, v64, v66
	v_fmac_f32_e32 v9, 0xbf167918, v28
	v_add_f32_e32 v26, v26, v43
	v_fmac_f32_e32 v23, v32, v87
	v_fmac_f32_e32 v13, 0x3e9e377a, v27
	v_fmac_f32_e32 v3, 0x3e9e377a, v27
	v_fmac_f32_e32 v17, 0x3e9e377a, v29
	v_fmamk_f32 v27, v30, 0xbf737871, v25
	v_sub_f32_e32 v32, v42, v67
	v_add_f32_e32 v28, v31, v33
	v_fma_f32 v10, -0.5, v34, v10
	v_fmac_f32_e32 v9, 0x3e9e377a, v29
	v_add_f32_e32 v29, v26, v66
	v_fmac_f32_e32 v25, 0x3f737871, v30
	v_sub_f32_e32 v26, v41, v64
	v_sub_f32_e32 v33, v43, v66
	v_add_f32_e32 v34, v11, v40
	v_add_f32_e32 v35, v42, v67
	v_mul_f32_e32 v63, v37, v81
	v_fmac_f32_e32 v27, 0xbf167918, v32
	v_fmamk_f32 v31, v32, 0x3f737871, v10
	v_fmac_f32_e32 v25, 0x3f167918, v32
	v_add_f32_e32 v33, v26, v33
	v_fmac_f32_e32 v10, 0xbf737871, v32
	v_add_f32_e32 v32, v34, v42
	v_fma_f32 v26, -0.5, v35, v11
	v_sub_f32_e32 v34, v64, v66
	v_fmac_f32_e32 v63, v36, v80
	v_fmac_f32_e32 v27, 0x3e9e377a, v28
	;; [unrolled: 1-line block ×5, first 2 shown]
	v_add_f32_e32 v30, v32, v67
	v_fmamk_f32 v28, v34, 0x3f737871, v26
	v_add_f32_e32 v32, v40, v68
	v_sub_f32_e32 v35, v41, v43
	v_sub_f32_e32 v36, v40, v42
	;; [unrolled: 1-line block ×3, first 2 shown]
	v_fmac_f32_e32 v26, 0xbf737871, v34
	v_fmac_f32_e32 v11, -0.5, v32
	v_fmac_f32_e32 v28, 0x3f167918, v35
	v_add_f32_e32 v39, v4, v69
	v_add_f32_e32 v36, v36, v37
	v_fmac_f32_e32 v26, 0xbf167918, v35
	v_fmac_f32_e32 v31, 0x3e9e377a, v33
	;; [unrolled: 1-line block ×3, first 2 shown]
	v_fmamk_f32 v32, v35, 0xbf737871, v11
	v_sub_f32_e32 v33, v42, v40
	v_sub_f32_e32 v37, v67, v68
	v_fmac_f32_e32 v28, 0x3e9e377a, v36
	v_add_f32_e32 v38, v53, v55
	v_fmac_f32_e32 v26, 0x3e9e377a, v36
	v_fmac_f32_e32 v11, 0x3f737871, v35
	v_add_f32_e32 v36, v39, v53
	v_fmac_f32_e32 v32, 0x3f167918, v34
	v_add_f32_e32 v37, v33, v37
	v_fma_f32 v33, -0.5, v38, v4
	v_sub_f32_e32 v38, v52, v62
	v_sub_f32_e32 v39, v69, v53
	;; [unrolled: 1-line block ×3, first 2 shown]
	v_add_f32_e32 v42, v69, v61
	v_fmac_f32_e32 v11, 0xbf167918, v34
	v_add_f32_e32 v34, v36, v55
	v_fmac_f32_e32 v32, 0x3e9e377a, v37
	v_fmamk_f32 v35, v38, 0xbf737871, v33
	v_sub_f32_e32 v40, v54, v60
	v_add_f32_e32 v36, v39, v41
	v_fma_f32 v4, -0.5, v42, v4
	v_fmac_f32_e32 v11, 0x3e9e377a, v37
	v_add_f32_e32 v37, v34, v61
	v_fmac_f32_e32 v33, 0x3f737871, v38
	v_sub_f32_e32 v34, v53, v69
	v_sub_f32_e32 v41, v55, v61
	v_add_f32_e32 v42, v5, v52
	v_add_f32_e32 v43, v54, v60
	v_mul_f32_e32 v21, v45, v83
	v_fmac_f32_e32 v35, 0xbf167918, v40
	v_fmamk_f32 v39, v40, 0x3f737871, v4
	v_fmac_f32_e32 v33, 0x3f167918, v40
	v_add_f32_e32 v41, v34, v41
	v_fmac_f32_e32 v4, 0xbf737871, v40
	v_add_f32_e32 v40, v42, v54
	v_fma_f32 v34, -0.5, v43, v5
	v_sub_f32_e32 v42, v69, v61
	v_fmac_f32_e32 v72, v48, v85
	v_fmac_f32_e32 v21, v44, v82
	;; [unrolled: 1-line block ×6, first 2 shown]
	v_add_f32_e32 v38, v40, v60
	v_fmamk_f32 v36, v42, 0x3f737871, v34
	v_add_f32_e32 v40, v52, v62
	v_sub_f32_e32 v43, v53, v55
	v_sub_f32_e32 v44, v52, v54
	v_sub_f32_e32 v45, v62, v60
	v_fmac_f32_e32 v34, 0xbf737871, v42
	v_fmac_f32_e32 v39, 0x3e9e377a, v41
	;; [unrolled: 1-line block ×3, first 2 shown]
	v_fma_f32 v5, -0.5, v40, v5
	v_fmac_f32_e32 v36, 0x3f167918, v43
	v_add_f32_e32 v44, v44, v45
	v_sub_f32_e32 v41, v54, v52
	v_sub_f32_e32 v45, v60, v62
	v_add_f32_e32 v46, v71, v72
	v_fmac_f32_e32 v34, 0xbf167918, v43
	v_add_f32_e32 v47, v6, v63
	v_fmamk_f32 v40, v43, 0xbf737871, v5
	v_fmac_f32_e32 v36, 0x3e9e377a, v44
	v_add_f32_e32 v45, v41, v45
	v_fma_f32 v41, -0.5, v46, v6
	v_sub_f32_e32 v46, v70, v50
	v_fmac_f32_e32 v34, 0x3e9e377a, v44
	v_fmac_f32_e32 v5, 0x3f737871, v43
	v_add_f32_e32 v44, v47, v71
	v_add_f32_e32 v52, v63, v49
	v_fmac_f32_e32 v40, 0x3f167918, v42
	v_fmamk_f32 v43, v46, 0xbf737871, v41
	v_sub_f32_e32 v48, v73, v74
	v_sub_f32_e32 v47, v63, v71
	;; [unrolled: 1-line block ×3, first 2 shown]
	v_fmac_f32_e32 v5, 0xbf167918, v42
	v_add_f32_e32 v42, v44, v72
	v_fma_f32 v6, -0.5, v52, v6
	v_fmac_f32_e32 v41, 0x3f737871, v46
	v_add_f32_e32 v52, v7, v70
	v_fmac_f32_e32 v40, 0x3e9e377a, v45
	v_fmac_f32_e32 v43, 0xbf167918, v48
	v_add_f32_e32 v44, v47, v51
	v_fmac_f32_e32 v5, 0x3e9e377a, v45
	v_add_f32_e32 v45, v42, v49
	v_fmamk_f32 v47, v48, 0x3f737871, v6
	v_sub_f32_e32 v42, v71, v63
	v_sub_f32_e32 v51, v72, v49
	v_fmac_f32_e32 v41, 0x3f167918, v48
	v_add_f32_e32 v53, v73, v74
	v_fmac_f32_e32 v6, 0xbf737871, v48
	v_add_f32_e32 v48, v52, v73
	;; [unrolled: 2-line block ×3, first 2 shown]
	v_fma_f32 v42, -0.5, v53, v7
	v_sub_f32_e32 v52, v63, v49
	v_fmac_f32_e32 v6, 0x3f167918, v46
	v_add_f32_e32 v46, v48, v74
	v_add_f32_e32 v48, v70, v50
	v_sub_f32_e32 v53, v70, v73
	v_sub_f32_e32 v54, v50, v74
	v_fmac_f32_e32 v43, 0x3e9e377a, v44
	v_fmac_f32_e32 v41, 0x3e9e377a, v44
	;; [unrolled: 1-line block ×3, first 2 shown]
	v_fmamk_f32 v44, v52, 0x3f737871, v42
	v_sub_f32_e32 v49, v71, v72
	v_fmac_f32_e32 v6, 0x3e9e377a, v51
	v_fmac_f32_e32 v7, -0.5, v48
	v_add_f32_e32 v46, v46, v50
	v_add_f32_e32 v51, v53, v54
	v_fmac_f32_e32 v42, 0xbf737871, v52
	v_sub_f32_e32 v53, v73, v70
	v_sub_f32_e32 v50, v74, v50
	v_add_f32_e32 v54, v20, v23
	v_fmac_f32_e32 v44, 0x3f167918, v49
	v_fmamk_f32 v48, v49, 0xbf737871, v7
	v_fmac_f32_e32 v42, 0xbf167918, v49
	v_add_f32_e32 v50, v53, v50
	v_fmac_f32_e32 v7, 0x3f737871, v49
	v_add_f32_e32 v53, v0, v21
	v_fma_f32 v49, -0.5, v54, v0
	v_sub_f32_e32 v54, v18, v24
	v_fmac_f32_e32 v44, 0x3e9e377a, v51
	v_fmac_f32_e32 v48, 0x3f167918, v52
	;; [unrolled: 1-line block ×4, first 2 shown]
	v_add_f32_e32 v52, v53, v20
	v_fmamk_f32 v51, v54, 0xbf737871, v49
	v_sub_f32_e32 v56, v19, v22
	v_sub_f32_e32 v53, v21, v20
	;; [unrolled: 1-line block ×3, first 2 shown]
	v_fmac_f32_e32 v49, 0x3f737871, v54
	v_add_f32_e32 v57, v21, v75
	v_fmac_f32_e32 v51, 0xbf167918, v56
	v_add_f32_e32 v52, v52, v23
	v_add_f32_e32 v55, v53, v55
	v_fmac_f32_e32 v49, 0x3f167918, v56
	v_fma_f32 v0, -0.5, v57, v0
	v_fmac_f32_e32 v48, 0x3e9e377a, v50
	v_fmac_f32_e32 v7, 0x3e9e377a, v50
	;; [unrolled: 1-line block ×4, first 2 shown]
	v_fmamk_f32 v55, v56, 0x3f737871, v0
	v_fmac_f32_e32 v0, 0xbf737871, v56
	v_add_f32_e32 v56, v1, v18
	v_add_f32_e32 v50, v19, v22
	;; [unrolled: 1-line block ×3, first 2 shown]
	v_fmac_f32_e32 v55, 0xbf167918, v54
	v_fmac_f32_e32 v0, 0x3f167918, v54
	v_add_f32_e32 v54, v56, v19
	v_add_f32_e32 v56, v18, v24
	v_sub_f32_e32 v52, v20, v21
	v_sub_f32_e32 v57, v23, v75
	v_fma_f32 v50, -0.5, v50, v1
	v_sub_f32_e32 v20, v20, v23
	v_fmac_f32_e32 v1, -0.5, v56
	v_sub_f32_e32 v21, v21, v75
	v_add_f32_e32 v57, v52, v57
	v_add_f32_e32 v23, v54, v22
	v_sub_f32_e32 v54, v18, v19
	v_fmamk_f32 v56, v20, 0xbf737871, v1
	v_sub_f32_e32 v18, v19, v18
	v_sub_f32_e32 v19, v22, v24
	v_fmac_f32_e32 v1, 0x3f737871, v20
	v_fmamk_f32 v52, v21, 0x3f737871, v50
	v_fmac_f32_e32 v55, 0x3e9e377a, v57
	v_fmac_f32_e32 v0, 0x3e9e377a, v57
	v_sub_f32_e32 v57, v24, v22
	v_fmac_f32_e32 v50, 0xbf737871, v21
	v_fmac_f32_e32 v56, 0x3f167918, v21
	v_add_f32_e32 v18, v18, v19
	v_fmac_f32_e32 v1, 0xbf167918, v21
	v_fmac_f32_e32 v52, 0x3f167918, v20
	v_add_f32_e32 v22, v54, v57
	v_add_f32_e32 v15, v15, v65
	v_fmac_f32_e32 v50, 0xbf167918, v20
	v_fmac_f32_e32 v56, 0x3e9e377a, v18
	;; [unrolled: 1-line block ×3, first 2 shown]
	v_add_nc_u32_e32 v18, 0x800, v160
	v_add_f32_e32 v54, v23, v24
	v_fmac_f32_e32 v52, 0x3e9e377a, v22
	v_add_f32_e32 v30, v30, v68
	v_add_f32_e32 v38, v38, v62
	v_fmac_f32_e32 v50, 0x3e9e377a, v22
	ds_write_b64 v156, v[14:15]
	ds_write2_b64 v160, v[12:13], v[27:28] offset0:65 offset1:78
	ds_write2_b64 v160, v[16:17], v[31:32] offset0:130 offset1:143
	;; [unrolled: 1-line block ×7, first 2 shown]
	v_add_nc_u32_e32 v2, 0x400, v165
	ds_write2_b64 v160, v[4:5], v[6:7] offset0:221 offset1:234
	ds_write2_b64 v18, v[33:34], v[41:42] offset0:30 offset1:43
	;; [unrolled: 1-line block ×5, first 2 shown]
	s_waitcnt lgkmcnt(0)
	s_barrier
	buffer_gl0_inv
	ds_read2_b64 v[0:3], v156 offset1:25
	v_mad_u64_u32 v[12:13], null, s10, v136, 0
	v_mad_u64_u32 v[16:17], null, s8, v157, 0
	s_waitcnt lgkmcnt(0)
	v_mul_f32_e32 v5, v150, v0
	v_mul_f32_e32 v4, v150, v1
	v_mul_f32_e32 v10, v148, v3
	v_mul_f32_e32 v14, v148, v2
	v_fma_f32 v5, v149, v1, -v5
	v_fmac_f32_e32 v4, v149, v0
	v_fmac_f32_e32 v10, v147, v2
	v_fma_f32 v3, v147, v3, -v14
	v_mov_b32_e32 v2, v13
	v_cvt_f64_f32_e32 v[8:9], v5
	v_cvt_f64_f32_e32 v[0:1], v4
	ds_read2_b64 v[4:7], v156 offset0:50 offset1:75
	v_cvt_f64_f32_e32 v[10:11], v10
	v_cvt_f64_f32_e32 v[18:19], v3
	v_mad_u64_u32 v[2:3], null, s11, v136, v[2:3]
	v_mov_b32_e32 v3, v17
	v_mov_b32_e32 v13, v2
	v_lshlrev_b64 v[12:13], 3, v[12:13]
	v_mul_f64 v[14:15], v[8:9], s[2:3]
	s_waitcnt lgkmcnt(0)
	v_mul_f32_e32 v8, v146, v5
	v_mul_f32_e32 v9, v146, v4
	v_mul_f64 v[0:1], v[0:1], s[2:3]
	v_mul_f64 v[22:23], v[10:11], s[2:3]
	;; [unrolled: 1-line block ×3, first 2 shown]
	v_fmac_f32_e32 v8, v145, v4
	v_fma_f32 v9, v145, v5, -v9
	v_mul_f32_e32 v24, v142, v7
	v_mul_f32_e32 v25, v142, v6
	v_cvt_f64_f32_e32 v[4:5], v8
	v_cvt_f64_f32_e32 v[20:21], v9
	ds_read2_b64 v[8:11], v156 offset0:100 offset1:125
	v_fmac_f32_e32 v24, v141, v6
	v_cvt_f32_f64_e32 v0, v[0:1]
	v_cvt_f32_f64_e32 v1, v[14:15]
	v_mad_u64_u32 v[2:3], null, s9, v157, v[3:4]
	v_mul_f64 v[14:15], v[4:5], s[2:3]
	s_waitcnt lgkmcnt(0)
	v_mul_f32_e32 v5, v144, v9
	v_fma_f32 v4, v141, v7, -v25
	v_mul_f32_e32 v6, v144, v8
	v_mul_f32_e32 v26, v138, v11
	v_mov_b32_e32 v17, v2
	v_add_co_u32 v2, s0, s14, v12
	v_add_co_ci_u32_e64 v3, s0, s15, v13, s0
	v_lshlrev_b64 v[12:13], 3, v[16:17]
	v_mul_f64 v[16:17], v[20:21], s[2:3]
	v_fmac_f32_e32 v5, v143, v8
	v_cvt_f32_f64_e32 v20, v[22:23]
	v_cvt_f64_f32_e32 v[22:23], v24
	v_cvt_f64_f32_e32 v[24:25], v4
	v_fma_f32 v4, v143, v9, -v6
	v_cvt_f64_f32_e32 v[8:9], v5
	v_cvt_f32_f64_e32 v21, v[18:19]
	s_mul_i32 s0, s9, 25
	v_fmac_f32_e32 v26, v137, v10
	v_cvt_f64_f32_e32 v[18:19], v4
	ds_read2_b64 v[4:7], v156 offset0:150 offset1:175
	s_add_i32 s5, s1, s0
	v_add_co_u32 v12, s0, v2, v12
	v_add_co_ci_u32_e64 v13, s0, v3, v13, s0
	s_lshl_b64 s[4:5], s[4:5], 3
	v_cvt_f32_f64_e32 v14, v[14:15]
	v_cvt_f32_f64_e32 v15, v[16:17]
	v_add_co_u32 v16, s0, v12, s4
	v_add_co_ci_u32_e64 v17, s0, s5, v13, s0
	global_store_dwordx2 v[12:13], v[0:1], off
	global_store_dwordx2 v[16:17], v[20:21], off
	v_mul_f64 v[0:1], v[8:9], s[2:3]
	v_mul_f32_e32 v8, v138, v10
	s_waitcnt lgkmcnt(0)
	v_mul_f32_e32 v9, v140, v5
	v_mul_f32_e32 v10, v140, v4
	v_mul_f64 v[12:13], v[18:19], s[2:3]
	v_cvt_f64_f32_e32 v[18:19], v26
	v_fma_f32 v8, v137, v11, -v8
	v_fmac_f32_e32 v9, v139, v4
	v_fma_f32 v4, v139, v5, -v10
	v_add_co_u32 v16, s0, v16, s4
	v_cvt_f64_f32_e32 v[20:21], v8
	v_cvt_f64_f32_e32 v[26:27], v9
	;; [unrolled: 1-line block ×3, first 2 shown]
	ds_read2_b64 v[8:11], v156 offset0:200 offset1:225
	v_add_co_ci_u32_e64 v17, s0, s5, v17, s0
	v_add_nc_u32_e32 v4, 0x400, v156
	v_mul_f32_e32 v30, v131, v7
	v_mul_f64 v[22:23], v[22:23], s[2:3]
	v_mul_f64 v[24:25], v[24:25], s[2:3]
	global_store_dwordx2 v[16:17], v[14:15], off
	v_cvt_f32_f64_e32 v0, v[0:1]
	v_mul_f32_e32 v31, v131, v6
	v_fmac_f32_e32 v30, v130, v6
	v_add_co_u32 v16, s0, v16, s4
	v_cvt_f32_f64_e32 v1, v[12:13]
	ds_read2_b64 v[12:15], v4 offset0:122 offset1:147
	v_fma_f32 v7, v130, v7, -v31
	v_mul_f64 v[18:19], v[18:19], s[2:3]
	v_add_co_ci_u32_e64 v17, s0, s5, v17, s0
	v_mul_f64 v[5:6], v[20:21], s[2:3]
	v_mul_f64 v[20:21], v[26:27], s[2:3]
	;; [unrolled: 1-line block ×3, first 2 shown]
	v_cvt_f64_f32_e32 v[28:29], v30
	ds_read_b64 v[30:31], v156 offset:2400
	s_waitcnt lgkmcnt(2)
	v_mul_f32_e32 v36, v129, v10
	v_cvt_f64_f32_e32 v[32:33], v7
	v_mul_f32_e32 v7, v125, v9
	v_mul_f32_e32 v34, v125, v8
	;; [unrolled: 1-line block ×3, first 2 shown]
	v_fma_f32 v11, v128, v11, -v36
	v_cvt_f32_f64_e32 v22, v[22:23]
	v_cvt_f32_f64_e32 v23, v[24:25]
	v_fmac_f32_e32 v7, v124, v8
	v_fma_f32 v9, v124, v9, -v34
	s_waitcnt lgkmcnt(1)
	v_mul_f32_e32 v38, v127, v13
	v_cvt_f64_f32_e32 v[36:37], v11
	v_mul_f32_e32 v11, v127, v12
	v_mul_f32_e32 v40, v133, v15
	v_fmac_f32_e32 v35, v128, v10
	v_fmac_f32_e32 v38, v126, v12
	v_mul_f32_e32 v12, v133, v14
	v_cvt_f64_f32_e32 v[7:8], v7
	v_cvt_f64_f32_e32 v[9:10], v9
	s_waitcnt lgkmcnt(0)
	v_mul_f32_e32 v41, v135, v31
	v_mul_f32_e32 v42, v135, v30
	v_fma_f32 v11, v126, v13, -v11
	v_fmac_f32_e32 v40, v132, v14
	v_fma_f32 v15, v132, v15, -v12
	v_fmac_f32_e32 v41, v134, v30
	v_fma_f32 v42, v134, v31, -v42
	v_cvt_f64_f32_e32 v[34:35], v35
	v_cvt_f64_f32_e32 v[38:39], v38
	;; [unrolled: 1-line block ×7, first 2 shown]
	v_add_co_u32 v24, s0, v16, s4
	v_add_co_ci_u32_e64 v25, s0, s5, v17, s0
	global_store_dwordx2 v[16:17], v[22:23], off
	global_store_dwordx2 v[24:25], v[0:1], off
	v_cvt_f32_f64_e32 v1, v[5:6]
	v_mul_f64 v[5:6], v[28:29], s[2:3]
	v_mul_f64 v[15:16], v[32:33], s[2:3]
	;; [unrolled: 1-line block ×4, first 2 shown]
	v_add_co_u32 v17, s0, v24, s4
	v_cvt_f32_f64_e32 v0, v[18:19]
	v_add_co_ci_u32_e64 v18, s0, s5, v25, s0
	v_cvt_f32_f64_e32 v19, v[20:21]
	v_cvt_f32_f64_e32 v20, v[26:27]
	v_mul_f64 v[21:22], v[34:35], s[2:3]
	v_mul_f64 v[23:24], v[36:37], s[2:3]
	;; [unrolled: 1-line block ×8, first 2 shown]
	v_add_co_u32 v33, s0, v17, s4
	v_add_co_ci_u32_e64 v34, s0, s5, v18, s0
	v_cvt_f32_f64_e32 v5, v[5:6]
	v_cvt_f32_f64_e32 v6, v[15:16]
	v_add_co_u32 v15, s0, v33, s4
	v_add_co_ci_u32_e64 v16, s0, s5, v34, s0
	v_cvt_f32_f64_e32 v7, v[7:8]
	v_cvt_f32_f64_e32 v8, v[9:10]
	;; [unrolled: 4-line block ×3, first 2 shown]
	v_cvt_f32_f64_e32 v23, v[25:26]
	v_add_co_u32 v25, s0, v9, s4
	v_cvt_f32_f64_e32 v24, v[11:12]
	v_add_co_ci_u32_e64 v26, s0, s5, v10, s0
	v_cvt_f32_f64_e32 v11, v[13:14]
	v_cvt_f32_f64_e32 v12, v[27:28]
	;; [unrolled: 1-line block ×4, first 2 shown]
	global_store_dwordx2 v[17:18], v[0:1], off
	v_add_co_u32 v17, s0, v25, s4
	v_add_co_ci_u32_e64 v18, s0, s5, v26, s0
	global_store_dwordx2 v[33:34], v[19:20], off
	v_add_co_u32 v19, s0, v17, s4
	v_add_co_ci_u32_e64 v20, s0, s5, v18, s0
	;; [unrolled: 3-line block ×3, first 2 shown]
	global_store_dwordx2 v[9:10], v[7:8], off
	global_store_dwordx2 v[25:26], v[21:22], off
	;; [unrolled: 1-line block ×5, first 2 shown]
	s_and_b32 exec_lo, exec_lo, vcc_lo
	s_cbranch_execz .LBB0_15
; %bb.14:
	global_load_dwordx2 v[5:6], v[120:121], off offset:104
	ds_read_b64 v[7:8], v160 offset:104
	v_mad_u64_u32 v[0:1], null, 0xfffff708, s8, v[0:1]
	s_mul_i32 s0, s9, 0xfffff708
	s_sub_i32 s0, s0, s8
	v_add_nc_u32_e32 v1, s0, v1
	s_waitcnt vmcnt(0) lgkmcnt(0)
	v_mul_f32_e32 v9, v8, v6
	v_mul_f32_e32 v6, v7, v6
	v_fmac_f32_e32 v9, v7, v5
	v_fma_f32 v7, v5, v8, -v6
	v_cvt_f64_f32_e32 v[5:6], v9
	v_cvt_f64_f32_e32 v[7:8], v7
	v_mul_f64 v[5:6], v[5:6], s[2:3]
	v_mul_f64 v[7:8], v[7:8], s[2:3]
	v_cvt_f32_f64_e32 v5, v[5:6]
	v_cvt_f32_f64_e32 v6, v[7:8]
	global_store_dwordx2 v[0:1], v[5:6], off
	global_load_dwordx2 v[9:10], v[120:121], off offset:304
	ds_read2_b64 v[5:8], v156 offset0:38 offset1:63
	v_add_co_u32 v0, vcc_lo, v0, s4
	v_add_co_ci_u32_e32 v1, vcc_lo, s5, v1, vcc_lo
	s_waitcnt vmcnt(0) lgkmcnt(0)
	v_mul_f32_e32 v11, v6, v10
	v_mul_f32_e32 v10, v5, v10
	v_fmac_f32_e32 v11, v5, v9
	v_fma_f32 v9, v9, v6, -v10
	v_cvt_f64_f32_e32 v[5:6], v11
	v_cvt_f64_f32_e32 v[9:10], v9
	v_mul_f64 v[5:6], v[5:6], s[2:3]
	v_mul_f64 v[9:10], v[9:10], s[2:3]
	v_cvt_f32_f64_e32 v5, v[5:6]
	v_cvt_f32_f64_e32 v6, v[9:10]
	global_store_dwordx2 v[0:1], v[5:6], off
	global_load_dwordx2 v[5:6], v[120:121], off offset:504
	v_add_co_u32 v0, vcc_lo, v0, s4
	v_add_co_ci_u32_e32 v1, vcc_lo, s5, v1, vcc_lo
	s_waitcnt vmcnt(0)
	v_mul_f32_e32 v9, v8, v6
	v_mul_f32_e32 v6, v7, v6
	v_fmac_f32_e32 v9, v7, v5
	v_fma_f32 v7, v5, v8, -v6
	v_cvt_f64_f32_e32 v[5:6], v9
	v_cvt_f64_f32_e32 v[7:8], v7
	v_mul_f64 v[5:6], v[5:6], s[2:3]
	v_mul_f64 v[7:8], v[7:8], s[2:3]
	v_cvt_f32_f64_e32 v5, v[5:6]
	v_cvt_f32_f64_e32 v6, v[7:8]
	global_store_dwordx2 v[0:1], v[5:6], off
	global_load_dwordx2 v[9:10], v[120:121], off offset:704
	ds_read2_b64 v[5:8], v156 offset0:88 offset1:113
	v_add_co_u32 v0, vcc_lo, v0, s4
	v_add_co_ci_u32_e32 v1, vcc_lo, s5, v1, vcc_lo
	s_waitcnt vmcnt(0) lgkmcnt(0)
	v_mul_f32_e32 v11, v6, v10
	v_mul_f32_e32 v10, v5, v10
	v_fmac_f32_e32 v11, v5, v9
	v_fma_f32 v9, v9, v6, -v10
	v_cvt_f64_f32_e32 v[5:6], v11
	v_cvt_f64_f32_e32 v[9:10], v9
	v_mul_f64 v[5:6], v[5:6], s[2:3]
	v_mul_f64 v[9:10], v[9:10], s[2:3]
	v_cvt_f32_f64_e32 v5, v[5:6]
	v_cvt_f32_f64_e32 v6, v[9:10]
	global_store_dwordx2 v[0:1], v[5:6], off
	global_load_dwordx2 v[5:6], v[120:121], off offset:904
	v_add_co_u32 v0, vcc_lo, v0, s4
	v_add_co_ci_u32_e32 v1, vcc_lo, s5, v1, vcc_lo
	s_waitcnt vmcnt(0)
	;; [unrolled: 31-line block ×5, first 2 shown]
	v_mul_f32_e32 v8, v7, v5
	v_mul_f32_e32 v5, v6, v5
	v_fmac_f32_e32 v8, v6, v4
	v_fma_f32 v6, v4, v7, -v5
	v_cvt_f64_f32_e32 v[4:5], v8
	v_cvt_f64_f32_e32 v[6:7], v6
	v_mul_f64 v[4:5], v[4:5], s[2:3]
	v_mul_f64 v[6:7], v[6:7], s[2:3]
	v_cvt_f32_f64_e32 v4, v[4:5]
	v_cvt_f32_f64_e32 v5, v[6:7]
	v_lshlrev_b32_e32 v6, 3, v155
	global_store_dwordx2 v[0:1], v[4:5], off
	global_load_dwordx2 v[8:9], v6, s[6:7]
	ds_read2_b64 v[4:7], v84 offset0:32 offset1:57
	v_mad_u64_u32 v[0:1], null, 0x190, s8, v[0:1]
	s_waitcnt vmcnt(0) lgkmcnt(0)
	v_mul_f32_e32 v10, v5, v9
	v_mul_f32_e32 v9, v4, v9
	v_fmac_f32_e32 v10, v4, v8
	v_fma_f32 v8, v8, v5, -v9
	v_cvt_f64_f32_e32 v[4:5], v10
	v_cvt_f64_f32_e32 v[8:9], v8
	v_mad_u64_u32 v[10:11], null, s8, v155, 0
	v_mad_u64_u32 v[11:12], null, s9, v155, v[11:12]
	v_mul_f64 v[4:5], v[4:5], s[2:3]
	v_mul_f64 v[8:9], v[8:9], s[2:3]
	v_cvt_f32_f64_e32 v4, v[4:5]
	v_cvt_f32_f64_e32 v5, v[8:9]
	v_lshlrev_b64 v[8:9], 3, v[10:11]
	v_add_co_u32 v2, vcc_lo, v2, v8
	v_add_co_ci_u32_e32 v3, vcc_lo, v3, v9, vcc_lo
	global_store_dwordx2 v[2:3], v[4:5], off
	global_load_dwordx2 v[2:3], v[122:123], off offset:456
	s_waitcnt vmcnt(0)
	v_mul_f32_e32 v4, v7, v3
	v_mul_f32_e32 v3, v6, v3
	v_fmac_f32_e32 v4, v6, v2
	v_fma_f32 v5, v2, v7, -v3
	v_cvt_f64_f32_e32 v[2:3], v4
	v_cvt_f64_f32_e32 v[4:5], v5
	v_mul_f64 v[2:3], v[2:3], s[2:3]
	v_mul_f64 v[4:5], v[4:5], s[2:3]
	v_cvt_f32_f64_e32 v2, v[2:3]
	v_cvt_f32_f64_e32 v3, v[4:5]
	v_mad_u64_u32 v[4:5], null, 0x190, s9, v[1:2]
	v_mov_b32_e32 v1, v4
	global_store_dwordx2 v[0:1], v[2:3], off
.LBB0_15:
	s_endpgm
	.section	.rodata,"a",@progbits
	.p2align	6, 0x0
	.amdhsa_kernel bluestein_single_back_len325_dim1_sp_op_CI_CI
		.amdhsa_group_segment_fixed_size 10400
		.amdhsa_private_segment_fixed_size 0
		.amdhsa_kernarg_size 104
		.amdhsa_user_sgpr_count 6
		.amdhsa_user_sgpr_private_segment_buffer 1
		.amdhsa_user_sgpr_dispatch_ptr 0
		.amdhsa_user_sgpr_queue_ptr 0
		.amdhsa_user_sgpr_kernarg_segment_ptr 1
		.amdhsa_user_sgpr_dispatch_id 0
		.amdhsa_user_sgpr_flat_scratch_init 0
		.amdhsa_user_sgpr_private_segment_size 0
		.amdhsa_wavefront_size32 1
		.amdhsa_uses_dynamic_stack 0
		.amdhsa_system_sgpr_private_segment_wavefront_offset 0
		.amdhsa_system_sgpr_workgroup_id_x 1
		.amdhsa_system_sgpr_workgroup_id_y 0
		.amdhsa_system_sgpr_workgroup_id_z 0
		.amdhsa_system_sgpr_workgroup_info 0
		.amdhsa_system_vgpr_workitem_id 0
		.amdhsa_next_free_vgpr 236
		.amdhsa_next_free_sgpr 18
		.amdhsa_reserve_vcc 1
		.amdhsa_reserve_flat_scratch 0
		.amdhsa_float_round_mode_32 0
		.amdhsa_float_round_mode_16_64 0
		.amdhsa_float_denorm_mode_32 3
		.amdhsa_float_denorm_mode_16_64 3
		.amdhsa_dx10_clamp 1
		.amdhsa_ieee_mode 1
		.amdhsa_fp16_overflow 0
		.amdhsa_workgroup_processor_mode 1
		.amdhsa_memory_ordered 1
		.amdhsa_forward_progress 0
		.amdhsa_shared_vgpr_count 0
		.amdhsa_exception_fp_ieee_invalid_op 0
		.amdhsa_exception_fp_denorm_src 0
		.amdhsa_exception_fp_ieee_div_zero 0
		.amdhsa_exception_fp_ieee_overflow 0
		.amdhsa_exception_fp_ieee_underflow 0
		.amdhsa_exception_fp_ieee_inexact 0
		.amdhsa_exception_int_div_zero 0
	.end_amdhsa_kernel
	.text
.Lfunc_end0:
	.size	bluestein_single_back_len325_dim1_sp_op_CI_CI, .Lfunc_end0-bluestein_single_back_len325_dim1_sp_op_CI_CI
                                        ; -- End function
	.section	.AMDGPU.csdata,"",@progbits
; Kernel info:
; codeLenInByte = 26824
; NumSgprs: 20
; NumVgprs: 236
; ScratchSize: 0
; MemoryBound: 0
; FloatMode: 240
; IeeeMode: 1
; LDSByteSize: 10400 bytes/workgroup (compile time only)
; SGPRBlocks: 2
; VGPRBlocks: 29
; NumSGPRsForWavesPerEU: 20
; NumVGPRsForWavesPerEU: 236
; Occupancy: 4
; WaveLimiterHint : 1
; COMPUTE_PGM_RSRC2:SCRATCH_EN: 0
; COMPUTE_PGM_RSRC2:USER_SGPR: 6
; COMPUTE_PGM_RSRC2:TRAP_HANDLER: 0
; COMPUTE_PGM_RSRC2:TGID_X_EN: 1
; COMPUTE_PGM_RSRC2:TGID_Y_EN: 0
; COMPUTE_PGM_RSRC2:TGID_Z_EN: 0
; COMPUTE_PGM_RSRC2:TIDIG_COMP_CNT: 0
	.text
	.p2alignl 6, 3214868480
	.fill 48, 4, 3214868480
	.type	__hip_cuid_46f9a3745ff812ab,@object ; @__hip_cuid_46f9a3745ff812ab
	.section	.bss,"aw",@nobits
	.globl	__hip_cuid_46f9a3745ff812ab
__hip_cuid_46f9a3745ff812ab:
	.byte	0                               ; 0x0
	.size	__hip_cuid_46f9a3745ff812ab, 1

	.ident	"AMD clang version 19.0.0git (https://github.com/RadeonOpenCompute/llvm-project roc-6.4.0 25133 c7fe45cf4b819c5991fe208aaa96edf142730f1d)"
	.section	".note.GNU-stack","",@progbits
	.addrsig
	.addrsig_sym __hip_cuid_46f9a3745ff812ab
	.amdgpu_metadata
---
amdhsa.kernels:
  - .args:
      - .actual_access:  read_only
        .address_space:  global
        .offset:         0
        .size:           8
        .value_kind:     global_buffer
      - .actual_access:  read_only
        .address_space:  global
        .offset:         8
        .size:           8
        .value_kind:     global_buffer
      - .actual_access:  read_only
        .address_space:  global
        .offset:         16
        .size:           8
        .value_kind:     global_buffer
      - .actual_access:  read_only
        .address_space:  global
        .offset:         24
        .size:           8
        .value_kind:     global_buffer
      - .actual_access:  read_only
        .address_space:  global
        .offset:         32
        .size:           8
        .value_kind:     global_buffer
      - .offset:         40
        .size:           8
        .value_kind:     by_value
      - .address_space:  global
        .offset:         48
        .size:           8
        .value_kind:     global_buffer
      - .address_space:  global
        .offset:         56
        .size:           8
        .value_kind:     global_buffer
      - .address_space:  global
        .offset:         64
        .size:           8
        .value_kind:     global_buffer
      - .address_space:  global
        .offset:         72
        .size:           8
        .value_kind:     global_buffer
      - .offset:         80
        .size:           4
        .value_kind:     by_value
      - .address_space:  global
        .offset:         88
        .size:           8
        .value_kind:     global_buffer
      - .address_space:  global
        .offset:         96
        .size:           8
        .value_kind:     global_buffer
    .group_segment_fixed_size: 10400
    .kernarg_segment_align: 8
    .kernarg_segment_size: 104
    .language:       OpenCL C
    .language_version:
      - 2
      - 0
    .max_flat_workgroup_size: 52
    .name:           bluestein_single_back_len325_dim1_sp_op_CI_CI
    .private_segment_fixed_size: 0
    .sgpr_count:     20
    .sgpr_spill_count: 0
    .symbol:         bluestein_single_back_len325_dim1_sp_op_CI_CI.kd
    .uniform_work_group_size: 1
    .uses_dynamic_stack: false
    .vgpr_count:     236
    .vgpr_spill_count: 0
    .wavefront_size: 32
    .workgroup_processor_mode: 1
amdhsa.target:   amdgcn-amd-amdhsa--gfx1030
amdhsa.version:
  - 1
  - 2
...

	.end_amdgpu_metadata
